;; amdgpu-corpus repo=ROCm/rocFFT kind=compiled arch=gfx1030 opt=O3
	.text
	.amdgcn_target "amdgcn-amd-amdhsa--gfx1030"
	.amdhsa_code_object_version 6
	.protected	bluestein_single_back_len990_dim1_dp_op_CI_CI ; -- Begin function bluestein_single_back_len990_dim1_dp_op_CI_CI
	.globl	bluestein_single_back_len990_dim1_dp_op_CI_CI
	.p2align	8
	.type	bluestein_single_back_len990_dim1_dp_op_CI_CI,@function
bluestein_single_back_len990_dim1_dp_op_CI_CI: ; @bluestein_single_back_len990_dim1_dp_op_CI_CI
; %bb.0:
	s_load_dwordx4 s[8:11], s[4:5], 0x28
	v_mul_u32_u24_e32 v1, 0x254, v0
	s_mov_b64 s[42:43], s[2:3]
	s_mov_b64 s[40:41], s[0:1]
	v_mov_b32_e32 v230, 0
	s_add_u32 s40, s40, s7
	v_lshrrev_b32_e32 v1, 16, v1
	s_addc_u32 s41, s41, 0
	s_mov_b32 s0, exec_lo
	v_add_nc_u32_e32 v229, s6, v1
	s_waitcnt lgkmcnt(0)
	v_cmpx_gt_u64_e64 s[8:9], v[229:230]
	s_cbranch_execz .LBB0_31
; %bb.1:
	s_clause 0x1
	s_load_dwordx4 s[0:3], s[4:5], 0x18
	s_load_dwordx2 s[6:7], s[4:5], 0x0
	v_mul_lo_u16 v1, 0x6e, v1
	v_sub_nc_u16 v66, v0, v1
	v_and_b32_e32 v224, 0xffff, v66
	v_lshlrev_b32_e32 v255, 4, v224
	s_waitcnt lgkmcnt(0)
	s_load_dwordx4 s[12:15], s[0:1], 0x0
	s_clause 0x1
	global_load_dwordx4 v[67:70], v255, s[6:7]
	global_load_dwordx4 v[71:74], v255, s[6:7] offset:1760
	v_add_co_u32 v221, s0, s6, v255
	v_add_co_ci_u32_e64 v222, null, s7, 0, s0
	v_add_co_u32 v227, vcc_lo, 0x1800, v221
	v_add_co_ci_u32_e32 v228, vcc_lo, 0, v222, vcc_lo
	v_add_co_u32 v0, vcc_lo, 0x2000, v221
	v_add_co_ci_u32_e32 v1, vcc_lo, 0, v222, vcc_lo
	v_add_co_u32 v4, vcc_lo, 0x800, v221
	v_add_co_ci_u32_e32 v5, vcc_lo, 0, v222, vcc_lo
	s_waitcnt lgkmcnt(0)
	v_mad_u64_u32 v[2:3], null, s14, v229, 0
	v_mad_u64_u32 v[6:7], null, s12, v224, 0
	v_add_co_u32 v8, vcc_lo, 0x2800, v221
	v_add_co_ci_u32_e32 v9, vcc_lo, 0, v222, vcc_lo
	v_mad_u64_u32 v[10:11], null, s15, v229, v[3:4]
	v_mad_u64_u32 v[11:12], null, s13, v224, v[7:8]
	v_add_co_u32 v30, vcc_lo, 0x1000, v221
	s_clause 0x1
	global_load_dwordx4 v[75:78], v[0:1], off offset:1488
	global_load_dwordx4 v[79:82], v[4:5], off offset:1472
	v_mov_b32_e32 v3, v10
	v_add_co_ci_u32_e32 v31, vcc_lo, 0, v222, vcc_lo
	v_mov_b32_e32 v7, v11
	v_add_co_u32 v32, vcc_lo, 0x3000, v221
	v_lshlrev_b64 v[0:1], 4, v[2:3]
	v_add_co_ci_u32_e32 v33, vcc_lo, 0, v222, vcc_lo
	v_lshlrev_b64 v[2:3], 4, v[6:7]
	s_mul_i32 s1, s13, 0x1ef
	s_mul_hi_u32 s7, s12, 0x1ef
	v_add_co_u32 v0, vcc_lo, s10, v0
	v_add_co_ci_u32_e32 v1, vcc_lo, s11, v1, vcc_lo
	s_mul_i32 s0, s12, 0x1ef
	v_add_co_u32 v0, vcc_lo, v0, v2
	s_mul_hi_u32 s9, s12, 0xfffffe7f
	s_add_i32 s1, s7, s1
	v_add_co_ci_u32_e32 v1, vcc_lo, v1, v3, vcc_lo
	s_mul_i32 s8, s13, 0xfffffe7f
	s_mul_i32 s6, s12, 0xfffffe7f
	s_sub_i32 s7, s9, s12
	s_lshl_b64 s[12:13], s[0:1], 4
	s_add_i32 s7, s7, s8
	v_add_co_u32 v6, vcc_lo, v0, s12
	v_add_co_ci_u32_e32 v7, vcc_lo, s13, v1, vcc_lo
	s_lshl_b64 s[0:1], s[6:7], 4
	s_clause 0x1
	global_load_dwordx4 v[87:90], v[227:228], off offset:1776
	global_load_dwordx4 v[83:86], v[8:9], off offset:1200
	v_add_co_u32 v10, vcc_lo, v6, s0
	v_add_co_ci_u32_e32 v11, vcc_lo, s1, v7, vcc_lo
	s_clause 0x1
	global_load_dwordx4 v[2:5], v[0:1], off
	global_load_dwordx4 v[6:9], v[6:7], off
	v_add_co_u32 v14, vcc_lo, v10, s12
	v_add_co_ci_u32_e32 v15, vcc_lo, s13, v11, vcc_lo
	v_add_co_u32 v18, vcc_lo, v14, s0
	v_add_co_ci_u32_e32 v19, vcc_lo, s1, v15, vcc_lo
	s_clause 0x1
	global_load_dwordx4 v[10:13], v[10:11], off
	global_load_dwordx4 v[14:17], v[14:15], off
	v_add_co_u32 v22, vcc_lo, v18, s12
	v_add_co_ci_u32_e32 v23, vcc_lo, s13, v19, vcc_lo
	global_load_dwordx4 v[18:21], v[18:19], off
	v_add_co_u32 v26, vcc_lo, v22, s0
	v_add_co_ci_u32_e32 v27, vcc_lo, s1, v23, vcc_lo
	v_add_co_u32 v0, vcc_lo, v26, s12
	v_add_co_ci_u32_e32 v1, vcc_lo, s13, v27, vcc_lo
	global_load_dwordx4 v[22:25], v[22:23], off
	global_load_dwordx4 v[26:29], v[26:27], off
	s_clause 0x1
	global_load_dwordx4 v[91:94], v[30:31], off offset:1184
	global_load_dwordx4 v[95:98], v[32:33], off offset:912
	global_load_dwordx4 v[30:33], v[0:1], off
	v_cmp_gt_u16_e32 vcc_lo, 55, v66
	s_waitcnt vmcnt(9)
	v_mul_f64 v[34:35], v[4:5], v[69:70]
	s_waitcnt vmcnt(8)
	v_mul_f64 v[38:39], v[8:9], v[89:90]
	v_mul_f64 v[36:37], v[2:3], v[69:70]
	;; [unrolled: 1-line block ×3, first 2 shown]
	s_waitcnt vmcnt(7)
	v_mul_f64 v[42:43], v[12:13], v[73:74]
	s_waitcnt vmcnt(6)
	v_mul_f64 v[46:47], v[16:17], v[77:78]
	v_mul_f64 v[44:45], v[10:11], v[73:74]
	;; [unrolled: 1-line block ×3, first 2 shown]
	s_waitcnt vmcnt(5)
	v_mul_f64 v[50:51], v[20:21], v[81:82]
	v_mul_f64 v[52:53], v[18:19], v[81:82]
	s_waitcnt vmcnt(4)
	v_mul_f64 v[54:55], v[24:25], v[85:86]
	v_fma_f64 v[2:3], v[2:3], v[67:68], v[34:35]
	s_waitcnt vmcnt(2)
	v_mul_f64 v[58:59], v[28:29], v[93:94]
	buffer_store_dword v67, off, s[40:43], 0 ; 4-byte Folded Spill
	buffer_store_dword v68, off, s[40:43], 0 offset:4 ; 4-byte Folded Spill
	buffer_store_dword v69, off, s[40:43], 0 offset:8 ; 4-byte Folded Spill
	;; [unrolled: 1-line block ×3, first 2 shown]
	s_waitcnt vmcnt(0)
	v_mul_f64 v[62:63], v[32:33], v[97:98]
	v_fma_f64 v[6:7], v[6:7], v[87:88], v[38:39]
	buffer_store_dword v87, off, s[40:43], 0 offset:80 ; 4-byte Folded Spill
	buffer_store_dword v88, off, s[40:43], 0 offset:84 ; 4-byte Folded Spill
	;; [unrolled: 1-line block ×4, first 2 shown]
	v_mul_f64 v[56:57], v[22:23], v[85:86]
	v_mul_f64 v[60:61], v[26:27], v[93:94]
	;; [unrolled: 1-line block ×3, first 2 shown]
	v_fma_f64 v[10:11], v[10:11], v[71:72], v[42:43]
	buffer_store_dword v71, off, s[40:43], 0 offset:16 ; 4-byte Folded Spill
	buffer_store_dword v72, off, s[40:43], 0 offset:20 ; 4-byte Folded Spill
	buffer_store_dword v73, off, s[40:43], 0 offset:24 ; 4-byte Folded Spill
	buffer_store_dword v74, off, s[40:43], 0 offset:28 ; 4-byte Folded Spill
	v_fma_f64 v[14:15], v[14:15], v[75:76], v[46:47]
	buffer_store_dword v75, off, s[40:43], 0 offset:32 ; 4-byte Folded Spill
	buffer_store_dword v76, off, s[40:43], 0 offset:36 ; 4-byte Folded Spill
	buffer_store_dword v77, off, s[40:43], 0 offset:40 ; 4-byte Folded Spill
	buffer_store_dword v78, off, s[40:43], 0 offset:44 ; 4-byte Folded Spill
	v_fma_f64 v[18:19], v[18:19], v[79:80], v[50:51]
	buffer_store_dword v79, off, s[40:43], 0 offset:48 ; 4-byte Folded Spill
	buffer_store_dword v80, off, s[40:43], 0 offset:52 ; 4-byte Folded Spill
	buffer_store_dword v81, off, s[40:43], 0 offset:56 ; 4-byte Folded Spill
	buffer_store_dword v82, off, s[40:43], 0 offset:60 ; 4-byte Folded Spill
	v_fma_f64 v[22:23], v[22:23], v[83:84], v[54:55]
	buffer_store_dword v83, off, s[40:43], 0 offset:64 ; 4-byte Folded Spill
	buffer_store_dword v84, off, s[40:43], 0 offset:68 ; 4-byte Folded Spill
	buffer_store_dword v85, off, s[40:43], 0 offset:72 ; 4-byte Folded Spill
	buffer_store_dword v86, off, s[40:43], 0 offset:76 ; 4-byte Folded Spill
	v_fma_f64 v[26:27], v[26:27], v[91:92], v[58:59]
	buffer_store_dword v91, off, s[40:43], 0 offset:96 ; 4-byte Folded Spill
	buffer_store_dword v92, off, s[40:43], 0 offset:100 ; 4-byte Folded Spill
	buffer_store_dword v93, off, s[40:43], 0 offset:104 ; 4-byte Folded Spill
	buffer_store_dword v94, off, s[40:43], 0 offset:108 ; 4-byte Folded Spill
	v_fma_f64 v[30:31], v[30:31], v[95:96], v[62:63]
	buffer_store_dword v95, off, s[40:43], 0 offset:112 ; 4-byte Folded Spill
	buffer_store_dword v96, off, s[40:43], 0 offset:116 ; 4-byte Folded Spill
	buffer_store_dword v97, off, s[40:43], 0 offset:120 ; 4-byte Folded Spill
	buffer_store_dword v98, off, s[40:43], 0 offset:124 ; 4-byte Folded Spill
	s_load_dwordx2 s[6:7], s[4:5], 0x38
	s_load_dwordx4 s[8:11], s[2:3], 0x0
	v_fma_f64 v[4:5], v[4:5], v[67:68], -v[36:37]
	v_fma_f64 v[8:9], v[8:9], v[87:88], -v[40:41]
	;; [unrolled: 1-line block ×4, first 2 shown]
	ds_write_b128 v255, v[2:5]
	ds_write_b128 v255, v[6:9] offset:7920
	ds_write_b128 v255, v[10:13] offset:1760
	;; [unrolled: 1-line block ×3, first 2 shown]
	v_fma_f64 v[20:21], v[20:21], v[79:80], -v[52:53]
	v_fma_f64 v[24:25], v[24:25], v[83:84], -v[56:57]
	;; [unrolled: 1-line block ×4, first 2 shown]
	ds_write_b128 v255, v[18:21] offset:3520
	ds_write_b128 v255, v[22:25] offset:11440
	;; [unrolled: 1-line block ×4, first 2 shown]
	s_and_saveexec_b32 s2, vcc_lo
	s_cbranch_execz .LBB0_3
; %bb.2:
	v_add_co_u32 v0, s0, v0, s0
	v_add_co_ci_u32_e64 v1, s0, s1, v1, s0
	v_add_co_u32 v8, s0, 0x3800, v221
	v_add_co_ci_u32_e64 v9, s0, 0, v222, s0
	;; [unrolled: 2-line block ×3, first 2 shown]
	global_load_dwordx4 v[0:3], v[0:1], off
	s_clause 0x1
	global_load_dwordx4 v[4:7], v[227:228], off offset:896
	global_load_dwordx4 v[8:11], v[8:9], off offset:624
	global_load_dwordx4 v[12:15], v[12:13], off
	s_waitcnt vmcnt(2)
	v_mul_f64 v[16:17], v[2:3], v[6:7]
	v_mul_f64 v[6:7], v[0:1], v[6:7]
	s_waitcnt vmcnt(0)
	v_mul_f64 v[18:19], v[14:15], v[10:11]
	v_mul_f64 v[10:11], v[12:13], v[10:11]
	v_fma_f64 v[0:1], v[0:1], v[4:5], v[16:17]
	v_fma_f64 v[2:3], v[2:3], v[4:5], -v[6:7]
	v_fma_f64 v[4:5], v[12:13], v[8:9], v[18:19]
	v_fma_f64 v[6:7], v[14:15], v[8:9], -v[10:11]
	ds_write_b128 v255, v[0:3] offset:7040
	ds_write_b128 v255, v[4:7] offset:14960
.LBB0_3:
	s_or_b32 exec_lo, exec_lo, s2
	s_waitcnt lgkmcnt(0)
	s_waitcnt_vscnt null, 0x0
	s_barrier
	buffer_gl0_inv
	ds_read_b128 v[36:39], v255
	ds_read_b128 v[40:43], v255 offset:1760
	ds_read_b128 v[68:71], v255 offset:7920
	ds_read_b128 v[64:67], v255 offset:9680
	ds_read_b128 v[44:47], v255 offset:3520
	ds_read_b128 v[48:51], v255 offset:5280
	ds_read_b128 v[60:63], v255 offset:11440
	ds_read_b128 v[52:55], v255 offset:13200
	s_load_dwordx2 s[2:3], s[4:5], 0x8
                                        ; implicit-def: $vgpr32_vgpr33
                                        ; implicit-def: $vgpr56_vgpr57
	s_and_saveexec_b32 s0, vcc_lo
	s_cbranch_execz .LBB0_5
; %bb.4:
	ds_read_b128 v[32:35], v255 offset:7040
	ds_read_b128 v[56:59], v255 offset:14960
.LBB0_5:
	s_or_b32 exec_lo, exec_lo, s0
	s_waitcnt lgkmcnt(0)
	v_add_f64 v[11:12], v[44:45], -v[60:61]
	v_add_f64 v[13:14], v[46:47], -v[62:63]
	;; [unrolled: 1-line block ×10, first 2 shown]
	v_add_co_u32 v2, s0, 0xdc, v224
	v_add_co_ci_u32_e64 v1, null, 0, 0, s0
	v_add_co_u32 v0, null, 0x6e, v224
	v_lshlrev_b16 v31, 1, v224
	v_mov_b32_e32 v1, 4
	v_lshlrev_b32_e32 v248, 5, v0
	s_barrier
	buffer_gl0_inv
	v_fma_f64 v[27:28], v[44:45], 2.0, -v[11:12]
	v_fma_f64 v[29:30], v[46:47], 2.0, -v[13:14]
	;; [unrolled: 1-line block ×8, first 2 shown]
	v_add_co_u32 v40, null, 0x1b8, v224
	v_lshlrev_b32_e32 v41, 5, v224
	v_lshlrev_b32_sdwa v230, v1, v31 dst_sel:DWORD dst_unused:UNUSED_PAD src0_sel:DWORD src1_sel:WORD_0
	v_lshlrev_b32_e32 v31, 5, v2
	v_lshlrev_b32_e32 v247, 5, v40
	ds_write_b128 v230, v[3:6] offset:16
	ds_write_b128 v248, v[7:10] offset:16
	;; [unrolled: 1-line block ×3, first 2 shown]
	ds_write_b128 v230, v[19:22]
	ds_write_b128 v248, v[23:26]
	buffer_store_dword v31, off, s[40:43], 0 offset:128 ; 4-byte Folded Spill
	ds_write_b128 v31, v[27:30]
	ds_write_b128 v41, v[36:39] offset:10560
	buffer_store_dword v41, off, s[40:43], 0 offset:132 ; 4-byte Folded Spill
	ds_write_b128 v41, v[15:18] offset:10576
	s_and_saveexec_b32 s0, vcc_lo
	s_cbranch_execz .LBB0_7
; %bb.6:
	v_fma_f64 v[5:6], v[34:35], 2.0, -v[82:83]
	v_fma_f64 v[3:4], v[32:33], 2.0, -v[80:81]
	ds_write_b128 v247, v[3:6]
	ds_write_b128 v247, v[80:83] offset:16
.LBB0_7:
	s_or_b32 exec_lo, exec_lo, s0
	v_and_b32_e32 v31, 1, v224
	s_waitcnt lgkmcnt(0)
	s_waitcnt_vscnt null, 0x0
	s_barrier
	buffer_gl0_inv
	s_mov_b32 s0, 0xe8584caa
	v_lshlrev_b32_e32 v3, 5, v31
	s_mov_b32 s1, 0x3febb67a
	s_mov_b32 s5, 0xbfebb67a
	;; [unrolled: 1-line block ×3, first 2 shown]
	s_clause 0x1
	global_load_dwordx4 v[36:39], v3, s[2:3]
	global_load_dwordx4 v[32:35], v3, s[2:3] offset:16
	ds_read_b128 v[3:6], v255 offset:5280
	ds_read_b128 v[7:10], v255 offset:10560
	;; [unrolled: 1-line block ×7, first 2 shown]
	ds_read_b128 v[40:43], v255
	ds_read_b128 v[44:47], v255 offset:1760
	s_waitcnt vmcnt(0) lgkmcnt(0)
	s_barrier
	buffer_gl0_inv
	v_mul_f64 v[48:49], v[5:6], v[38:39]
	v_mul_f64 v[50:51], v[9:10], v[34:35]
	;; [unrolled: 1-line block ×12, first 2 shown]
	v_fma_f64 v[48:49], v[3:4], v[36:37], -v[48:49]
	v_fma_f64 v[7:8], v[7:8], v[32:33], -v[50:51]
	v_fma_f64 v[5:6], v[5:6], v[36:37], v[52:53]
	v_fma_f64 v[9:10], v[9:10], v[32:33], v[54:55]
	v_fma_f64 v[11:12], v[11:12], v[36:37], -v[56:57]
	v_fma_f64 v[15:16], v[15:16], v[32:33], -v[58:59]
	v_fma_f64 v[13:14], v[13:14], v[36:37], v[60:61]
	v_fma_f64 v[17:18], v[17:18], v[32:33], v[62:63]
	;; [unrolled: 4-line block ×3, first 2 shown]
	v_lshrrev_b32_e32 v50, 1, v224
	v_lshrrev_b32_e32 v51, 1, v0
	;; [unrolled: 1-line block ×3, first 2 shown]
	v_mov_b32_e32 v56, 0xaaab
	v_and_b32_e32 v4, 0xff, v224
	v_mul_u32_u24_e32 v76, 6, v50
	v_mul_u32_u24_e32 v77, 6, v51
	;; [unrolled: 1-line block ×3, first 2 shown]
	v_mul_u32_u24_sdwa v64, v2, v56 dst_sel:DWORD dst_unused:UNUSED_PAD src0_sel:WORD_0 src1_sel:DWORD
	v_and_b32_e32 v3, 0xff, v0
	v_mul_lo_u16 v62, 0xab, v4
	v_add_f64 v[50:51], v[48:49], v[7:8]
	v_add_f64 v[66:67], v[42:43], v[5:6]
	v_add_f64 v[52:53], v[5:6], v[9:10]
	v_mul_lo_u16 v63, 0xab, v3
	v_add_f64 v[54:55], v[11:12], v[15:16]
	v_lshrrev_b16 v120, 10, v62
	v_add_f64 v[56:57], v[13:14], v[17:18]
	v_lshrrev_b32_e32 v122, 18, v64
	v_add_f64 v[58:59], v[19:20], v[23:24]
	v_lshrrev_b16 v121, 10, v63
	v_add_f64 v[60:61], v[21:22], v[25:26]
	v_add_f64 v[62:63], v[40:41], v[48:49]
	v_add_f64 v[64:65], v[5:6], -v[9:10]
	v_add_f64 v[70:71], v[46:47], v[13:14]
	v_add_f64 v[48:49], v[48:49], -v[7:8]
	v_add_f64 v[68:69], v[44:45], v[11:12]
	v_add_f64 v[72:73], v[27:28], v[19:20]
	;; [unrolled: 1-line block ×3, first 2 shown]
	v_mul_lo_u16 v79, v122, 6
	v_fma_f64 v[40:41], v[50:51], -0.5, v[40:41]
	v_add_f64 v[50:51], v[13:14], -v[17:18]
	v_fma_f64 v[42:43], v[52:53], -0.5, v[42:43]
	v_add_f64 v[52:53], v[11:12], -v[15:16]
	;; [unrolled: 2-line block ×3, first 2 shown]
	v_fma_f64 v[46:47], v[56:57], -0.5, v[46:47]
	v_sub_nc_u16 v2, v2, v79
	v_fma_f64 v[56:57], v[58:59], -0.5, v[27:28]
	v_add_f64 v[58:59], v[19:20], -v[23:24]
	v_fma_f64 v[29:30], v[60:61], -0.5, v[29:30]
	v_add_f64 v[5:6], v[62:63], v[7:8]
	v_add_f64 v[7:8], v[66:67], v[9:10]
	;; [unrolled: 1-line block ×3, first 2 shown]
	v_or_b32_e32 v60, v76, v31
	v_mul_lo_u16 v76, v120, 6
	v_add_f64 v[9:10], v[68:69], v[15:16]
	v_add_f64 v[13:14], v[72:73], v[23:24]
	;; [unrolled: 1-line block ×3, first 2 shown]
	v_or_b32_e32 v61, v77, v31
	v_mul_lo_u16 v77, v121, 6
	v_or_b32_e32 v31, v78, v31
	v_fma_f64 v[17:18], v[64:65], s[0:1], v[40:41]
	v_fma_f64 v[21:22], v[64:65], s[4:5], v[40:41]
	v_fma_f64 v[19:20], v[48:49], s[4:5], v[42:43]
	v_fma_f64 v[23:24], v[48:49], s[0:1], v[42:43]
	v_fma_f64 v[25:26], v[50:51], s[0:1], v[44:45]
	v_fma_f64 v[40:41], v[50:51], s[4:5], v[44:45]
	v_fma_f64 v[42:43], v[52:53], s[0:1], v[46:47]
	v_fma_f64 v[27:28], v[52:53], s[4:5], v[46:47]
	v_fma_f64 v[48:49], v[54:55], s[4:5], v[56:57]
	v_fma_f64 v[44:45], v[54:55], s[0:1], v[56:57]
	v_fma_f64 v[50:51], v[58:59], s[0:1], v[29:30]
	v_fma_f64 v[46:47], v[58:59], s[4:5], v[29:30]
	v_sub_nc_u16 v29, v224, v76
	v_sub_nc_u16 v30, v0, v77
	v_lshlrev_b32_e32 v54, 4, v60
	v_lshlrev_b32_e32 v53, 4, v61
	;; [unrolled: 1-line block ×3, first 2 shown]
	v_and_b32_e32 v123, 0xff, v29
	v_lshlrev_b16 v29, 5, v2
	v_and_b32_e32 v124, 0xff, v30
	v_mad_u16 v2, v122, 18, v2
	ds_write_b128 v54, v[5:8]
	ds_write_b128 v54, v[17:20] offset:32
	v_and_b32_e32 v29, 0xffff, v29
	v_lshlrev_b32_e32 v30, 5, v123
	v_lshlrev_b32_e32 v31, 5, v124
	buffer_store_dword v54, off, s[40:43], 0 offset:156 ; 4-byte Folded Spill
	ds_write_b128 v54, v[21:24] offset:64
	ds_write_b128 v53, v[9:12]
	ds_write_b128 v53, v[25:28] offset:32
	v_add_co_u32 v5, s12, s2, v29
	v_add_co_ci_u32_e64 v6, null, s3, 0, s12
	buffer_store_dword v53, off, s[40:43], 0 offset:152 ; 4-byte Folded Spill
	ds_write_b128 v53, v[40:43] offset:64
	ds_write_b128 v52, v[13:16]
	ds_write_b128 v52, v[44:47] offset:32
	buffer_store_dword v52, off, s[40:43], 0 offset:148 ; 4-byte Folded Spill
	ds_write_b128 v52, v[48:51] offset:64
	s_waitcnt lgkmcnt(0)
	s_waitcnt_vscnt null, 0x0
	s_barrier
	buffer_gl0_inv
	s_clause 0x5
	global_load_dwordx4 v[40:43], v30, s[2:3] offset:80
	global_load_dwordx4 v[52:55], v30, s[2:3] offset:64
	;; [unrolled: 1-line block ×4, first 2 shown]
	global_load_dwordx4 v[60:63], v[5:6], off offset:64
	global_load_dwordx4 v[56:59], v[5:6], off offset:80
	ds_read_b128 v[5:8], v255 offset:5280
	ds_read_b128 v[9:12], v255 offset:10560
	;; [unrolled: 1-line block ×7, first 2 shown]
	v_mov_b32_e32 v31, 18
	v_lshlrev_b32_sdwa v1, v1, v2 dst_sel:DWORD dst_unused:UNUSED_PAD src0_sel:DWORD src1_sel:WORD_0
	s_waitcnt vmcnt(3) lgkmcnt(4)
	v_mul_f64 v[74:75], v[15:16], v[50:51]
	v_mul_f64 v[68:69], v[11:12], v[42:43]
	s_waitcnt vmcnt(2) lgkmcnt(3)
	v_mul_f64 v[76:77], v[19:20], v[46:47]
	v_mul_f64 v[72:73], v[9:10], v[42:43]
	;; [unrolled: 1-line block ×6, first 2 shown]
	s_waitcnt vmcnt(1) lgkmcnt(2)
	v_mul_f64 v[86:87], v[23:24], v[62:63]
	s_waitcnt vmcnt(0) lgkmcnt(1)
	v_mul_f64 v[88:89], v[27:28], v[58:59]
	v_mul_f64 v[90:91], v[21:22], v[62:63]
	;; [unrolled: 1-line block ×3, first 2 shown]
	v_fma_f64 v[13:14], v[13:14], v[48:49], -v[74:75]
	v_fma_f64 v[68:69], v[9:10], v[40:41], -v[68:69]
	buffer_store_dword v40, off, s[40:43], 0 offset:164 ; 4-byte Folded Spill
	buffer_store_dword v41, off, s[40:43], 0 offset:168 ; 4-byte Folded Spill
	;; [unrolled: 1-line block ×4, first 2 shown]
	v_fma_f64 v[17:18], v[17:18], v[44:45], -v[76:77]
	buffer_store_dword v44, off, s[40:43], 0 offset:180 ; 4-byte Folded Spill
	buffer_store_dword v45, off, s[40:43], 0 offset:184 ; 4-byte Folded Spill
	;; [unrolled: 1-line block ×4, first 2 shown]
	v_fma_f64 v[29:30], v[5:6], v[52:53], -v[29:30]
	v_fma_f64 v[70:71], v[7:8], v[52:53], v[70:71]
	v_fma_f64 v[15:16], v[15:16], v[48:49], v[78:79]
	v_fma_f64 v[21:22], v[21:22], v[60:61], -v[86:87]
	v_fma_f64 v[25:26], v[25:26], v[56:57], -v[88:89]
	v_fma_f64 v[23:24], v[23:24], v[60:61], v[90:91]
	v_fma_f64 v[27:28], v[27:28], v[56:57], v[92:93]
	v_add_f64 v[78:79], v[13:14], v[17:18]
	v_add_f64 v[104:105], v[13:14], -v[17:18]
	v_add_f64 v[74:75], v[29:30], v[68:69]
	s_waitcnt lgkmcnt(0)
	v_add_f64 v[98:99], v[64:65], v[21:22]
	v_add_f64 v[86:87], v[21:22], v[25:26]
	;; [unrolled: 1-line block ×4, first 2 shown]
	v_add_f64 v[106:107], v[23:24], -v[27:28]
	v_add_f64 v[108:109], v[98:99], v[25:26]
	v_fma_f64 v[64:65], v[86:87], -0.5, v[64:65]
	v_add_f64 v[86:87], v[21:22], -v[25:26]
	v_fma_f64 v[66:67], v[88:89], -0.5, v[66:67]
	v_add_f64 v[110:111], v[100:101], v[27:28]
	v_mul_u32_u24_sdwa v25, v120, v31 dst_sel:DWORD dst_unused:UNUSED_PAD src0_sel:WORD_0 src1_sel:DWORD
	v_mul_u32_u24_sdwa v26, v121, v31 dst_sel:DWORD dst_unused:UNUSED_PAD src0_sel:WORD_0 src1_sel:DWORD
	v_add_lshl_u32 v27, v25, v123, 4
	v_add_lshl_u32 v25, v26, v124, 4
	v_fma_f64 v[116:117], v[106:107], s[4:5], v[64:65]
	v_fma_f64 v[112:113], v[106:107], s[0:1], v[64:65]
	;; [unrolled: 1-line block ×5, first 2 shown]
	ds_read_b128 v[5:8], v255
	ds_read_b128 v[9:12], v255 offset:1760
	v_fma_f64 v[19:20], v[19:20], v[44:45], v[84:85]
	s_waitcnt lgkmcnt(0)
	s_waitcnt_vscnt null, 0x0
	s_barrier
	buffer_gl0_inv
	v_add_f64 v[90:91], v[5:6], v[29:30]
	v_add_f64 v[94:95], v[9:10], v[13:14]
	;; [unrolled: 1-line block ×3, first 2 shown]
	v_add_f64 v[92:93], v[70:71], -v[72:73]
	v_add_f64 v[84:85], v[15:16], v[19:20]
	v_add_f64 v[70:71], v[7:8], v[70:71]
	;; [unrolled: 1-line block ×3, first 2 shown]
	v_fma_f64 v[74:75], v[74:75], -0.5, v[5:6]
	v_add_f64 v[29:30], v[29:30], -v[68:69]
	v_add_f64 v[102:103], v[15:16], -v[19:20]
	v_fma_f64 v[78:79], v[78:79], -0.5, v[9:10]
	v_add_f64 v[5:6], v[90:91], v[68:69]
	v_add_f64 v[9:10], v[94:95], v[17:18]
	v_fma_f64 v[76:77], v[76:77], -0.5, v[7:8]
	v_fma_f64 v[84:85], v[84:85], -0.5, v[11:12]
	v_add_f64 v[7:8], v[70:71], v[72:73]
	v_add_f64 v[11:12], v[96:97], v[19:20]
	v_fma_f64 v[17:18], v[92:93], s[4:5], v[74:75]
	v_fma_f64 v[13:14], v[92:93], s[0:1], v[74:75]
	;; [unrolled: 1-line block ×8, first 2 shown]
	ds_write_b128 v27, v[5:8]
	ds_write_b128 v27, v[13:16] offset:96
	buffer_store_dword v27, off, s[40:43], 0 offset:144 ; 4-byte Folded Spill
	ds_write_b128 v27, v[17:20] offset:192
	ds_write_b128 v25, v[9:12]
	ds_write_b128 v25, v[21:24] offset:96
	buffer_store_dword v25, off, s[40:43], 0 offset:140 ; 4-byte Folded Spill
	ds_write_b128 v25, v[100:103] offset:192
	;; [unrolled: 4-line block ×3, first 2 shown]
	s_waitcnt lgkmcnt(0)
	s_waitcnt_vscnt null, 0x0
	s_barrier
	buffer_gl0_inv
	ds_read_b128 v[104:107], v255
	ds_read_b128 v[132:135], v255 offset:3168
	ds_read_b128 v[128:131], v255 offset:6336
	;; [unrolled: 1-line block ×4, first 2 shown]
	v_cmp_gt_u16_e64 s0, 0x58, v224
	s_and_saveexec_b32 s1, s0
	s_cbranch_execz .LBB0_9
; %bb.8:
	ds_read_b128 v[100:103], v255 offset:1760
	ds_read_b128 v[108:111], v255 offset:4928
	;; [unrolled: 1-line block ×5, first 2 shown]
.LBB0_9:
	s_or_b32 exec_lo, exec_lo, s1
	v_mul_lo_u16 v1, v4, 57
	v_mul_lo_u16 v2, v3, 57
	s_mov_b32 s12, 0x134454ff
	s_mov_b32 s13, 0x3fee6f0e
	;; [unrolled: 1-line block ×3, first 2 shown]
	v_lshrrev_b16 v176, 10, v1
	v_lshrrev_b16 v180, 10, v2
	s_mov_b32 s16, s12
	s_mov_b32 s4, 0x4755a5e
	;; [unrolled: 1-line block ×3, first 2 shown]
	v_mul_lo_u16 v1, v176, 18
	s_mov_b32 s15, 0xbfe2cf23
	s_mov_b32 s14, s4
	v_sub_nc_u16 v1, v224, v1
	v_and_b32_e32 v177, 0xff, v1
	v_mul_lo_u16 v1, v180, 18
	v_lshlrev_b32_e32 v2, 6, v177
	v_sub_nc_u16 v0, v0, v1
	s_clause 0x1
	global_load_dwordx4 v[96:99], v2, s[2:3] offset:256
	global_load_dwordx4 v[92:95], v2, s[2:3] offset:272
	v_and_b32_e32 v223, 0xff, v0
	s_clause 0x1
	global_load_dwordx4 v[84:87], v2, s[2:3] offset:288
	global_load_dwordx4 v[88:91], v2, s[2:3] offset:304
	v_lshlrev_b32_e32 v0, 6, v223
	s_clause 0x3
	global_load_dwordx4 v[64:67], v0, s[2:3] offset:256
	global_load_dwordx4 v[76:79], v0, s[2:3] offset:272
	;; [unrolled: 1-line block ×4, first 2 shown]
	s_waitcnt vmcnt(0) lgkmcnt(0)
	s_barrier
	buffer_gl0_inv
	v_mul_f64 v[0:1], v[134:135], v[98:99]
	v_mul_f64 v[2:3], v[132:133], v[98:99]
	;; [unrolled: 1-line block ×16, first 2 shown]
	v_fma_f64 v[0:1], v[132:133], v[96:97], -v[0:1]
	v_fma_f64 v[2:3], v[134:135], v[96:97], v[2:3]
	v_fma_f64 v[4:5], v[128:129], v[92:93], -v[4:5]
	v_fma_f64 v[6:7], v[130:131], v[92:93], v[6:7]
	;; [unrolled: 2-line block ×3, first 2 shown]
	v_fma_f64 v[12:13], v[122:123], v[84:85], v[12:13]
	v_fma_f64 v[14:15], v[124:125], v[88:89], -v[14:15]
	v_fma_f64 v[16:17], v[108:109], v[64:65], -v[16:17]
	v_fma_f64 v[18:19], v[110:111], v[64:65], v[18:19]
	v_fma_f64 v[20:21], v[112:113], v[76:77], -v[20:21]
	v_fma_f64 v[22:23], v[114:115], v[76:77], v[22:23]
	;; [unrolled: 2-line block ×4, first 2 shown]
	v_add_f64 v[80:81], v[104:105], v[0:1]
	v_add_f64 v[122:123], v[106:107], v[2:3]
	v_add_f64 v[112:113], v[0:1], -v[4:5]
	v_add_f64 v[118:119], v[4:5], -v[0:1]
	v_add_f64 v[82:83], v[4:5], v[8:9]
	v_add_f64 v[132:133], v[2:3], v[10:11]
	;; [unrolled: 1-line block ×3, first 2 shown]
	v_add_f64 v[114:115], v[14:15], -v[8:9]
	v_add_f64 v[116:117], v[0:1], v[14:15]
	v_add_f64 v[108:109], v[2:3], -v[10:11]
	v_add_f64 v[110:111], v[6:7], -v[12:13]
	v_add_f64 v[120:121], v[8:9], -v[14:15]
	v_add_f64 v[0:1], v[0:1], -v[14:15]
	v_add_f64 v[136:137], v[20:21], v[24:25]
	v_add_f64 v[144:145], v[22:23], v[26:27]
	;; [unrolled: 1-line block ×4, first 2 shown]
	v_add_f64 v[126:127], v[4:5], -v[8:9]
	v_add_f64 v[128:129], v[2:3], -v[6:7]
	;; [unrolled: 1-line block ×5, first 2 shown]
	v_add_f64 v[138:139], v[100:101], v[16:17]
	v_add_f64 v[142:143], v[18:19], -v[30:31]
	v_add_f64 v[146:147], v[22:23], -v[26:27]
	;; [unrolled: 1-line block ×5, first 2 shown]
	v_add_f64 v[158:159], v[102:103], v[18:19]
	v_add_f64 v[16:17], v[16:17], -v[28:29]
	v_add_f64 v[160:161], v[20:21], -v[24:25]
	v_fma_f64 v[82:83], v[82:83], -0.5, v[104:105]
	v_fma_f64 v[104:105], v[116:117], -0.5, v[104:105]
	;; [unrolled: 1-line block ×5, first 2 shown]
	v_add_f64 v[4:5], v[80:81], v[4:5]
	v_fma_f64 v[80:81], v[140:141], -0.5, v[100:101]
	v_add_f64 v[100:101], v[112:113], v[114:115]
	v_fma_f64 v[112:113], v[144:145], -0.5, v[102:103]
	v_fma_f64 v[102:103], v[148:149], -0.5, v[102:103]
	v_add_f64 v[156:157], v[24:25], -v[28:29]
	v_add_f64 v[162:163], v[18:19], -v[22:23]
	;; [unrolled: 1-line block ×5, first 2 shown]
	v_add_f64 v[114:115], v[118:119], v[120:121]
	v_add_f64 v[6:7], v[122:123], v[6:7]
	;; [unrolled: 1-line block ×7, first 2 shown]
	v_fma_f64 v[128:129], v[108:109], s[12:13], v[82:83]
	v_fma_f64 v[82:83], v[108:109], s[16:17], v[82:83]
	;; [unrolled: 1-line block ×16, first 2 shown]
	v_add_f64 v[122:123], v[154:155], v[156:157]
	v_add_f64 v[116:117], v[162:163], v[116:117]
	;; [unrolled: 1-line block ×7, first 2 shown]
	v_fma_f64 v[20:21], v[110:111], s[4:5], v[128:129]
	v_fma_f64 v[22:23], v[110:111], s[14:15], v[82:83]
	;; [unrolled: 1-line block ×16, first 2 shown]
	s_mov_b32 s4, 0x372fe950
	s_mov_b32 s5, 0x3fd3c6ef
	v_add_f64 v[140:141], v[4:5], v[14:15]
	v_add_f64 v[142:143], v[6:7], v[10:11]
	;; [unrolled: 1-line block ×4, first 2 shown]
	v_fma_f64 v[164:165], v[100:101], s[4:5], v[20:21]
	v_fma_f64 v[152:153], v[100:101], s[4:5], v[22:23]
	;; [unrolled: 1-line block ×16, first 2 shown]
	v_mov_b32_e32 v0, 0x5a
	v_mul_u32_u24_sdwa v1, v176, v0 dst_sel:DWORD dst_unused:UNUSED_PAD src0_sel:WORD_0 src1_sel:DWORD
	v_add_lshl_u32 v1, v1, v177, 4
	ds_write_b128 v1, v[140:143]
	ds_write_b128 v1, v[164:167] offset:288
	ds_write_b128 v1, v[168:171] offset:576
	;; [unrolled: 1-line block ×3, first 2 shown]
	buffer_store_dword v1, off, s[40:43], 0 offset:160 ; 4-byte Folded Spill
	ds_write_b128 v1, v[152:155] offset:1152
	s_and_saveexec_b32 s1, s0
	s_cbranch_execz .LBB0_11
; %bb.10:
	v_mul_u32_u24_sdwa v0, v180, v0 dst_sel:DWORD dst_unused:UNUSED_PAD src0_sel:WORD_0 src1_sel:DWORD
	v_add_lshl_u32 v0, v0, v223, 4
	ds_write_b128 v0, v[156:159]
	ds_write_b128 v0, v[136:139] offset:288
	ds_write_b128 v0, v[144:147] offset:576
	;; [unrolled: 1-line block ×4, first 2 shown]
.LBB0_11:
	s_or_b32 exec_lo, exec_lo, s1
	v_cmp_gt_u16_e64 s1, 0x5a, v224
	s_waitcnt lgkmcnt(0)
	s_waitcnt_vscnt null, 0x0
	s_barrier
	buffer_gl0_inv
                                        ; implicit-def: $vgpr176_vgpr177
	s_and_saveexec_b32 s4, s1
	s_cbranch_execz .LBB0_13
; %bb.12:
	ds_read_b128 v[140:143], v255
	ds_read_b128 v[164:167], v255 offset:1440
	ds_read_b128 v[168:171], v255 offset:2880
	ds_read_b128 v[148:151], v255 offset:4320
	ds_read_b128 v[152:155], v255 offset:5760
	ds_read_b128 v[156:159], v255 offset:7200
	ds_read_b128 v[136:139], v255 offset:8640
	ds_read_b128 v[144:147], v255 offset:10080
	ds_read_b128 v[160:163], v255 offset:11520
	ds_read_b128 v[172:175], v255 offset:12960
	ds_read_b128 v[176:179], v255 offset:14400
.LBB0_13:
	s_or_b32 exec_lo, exec_lo, s4
	v_add_nc_u32_e32 v0, 0xffffffa6, v224
	s_mov_b32 s18, 0x43842ef
	s_mov_b32 s19, 0xbfefac9e
	;; [unrolled: 1-line block ×4, first 2 shown]
	v_cndmask_b32_e64 v0, v0, v224, s1
	s_mov_b32 s4, 0x8764f0ba
	s_mov_b32 s5, 0x3feaeb8c
	;; [unrolled: 1-line block ×4, first 2 shown]
	v_mul_i32_i24_e32 v1, 0xa0, v0
	v_mul_hi_i32_i24_e32 v2, 0xa0, v0
	s_mov_b32 s16, 0x640f44db
	s_mov_b32 s17, 0xbfc2375f
	;; [unrolled: 1-line block ×3, first 2 shown]
	v_add_co_u32 v0, s2, s2, v1
	v_add_co_ci_u32_e64 v1, s2, s3, v2, s2
	s_mov_b32 s2, 0x8eee2c13
	s_mov_b32 s3, 0xbfed1bb4
	;; [unrolled: 1-line block ×3, first 2 shown]
	s_clause 0x9
	global_load_dwordx4 v[80:83], v[0:1], off offset:1408
	global_load_dwordx4 v[132:135], v[0:1], off offset:1552
	;; [unrolled: 1-line block ×10, first 2 shown]
	s_mov_b32 s20, 0x7f775887
	s_mov_b32 s21, 0xbfe4f49e
	;; [unrolled: 1-line block ×14, first 2 shown]
	s_waitcnt vmcnt(9) lgkmcnt(9)
	v_mul_f64 v[0:1], v[164:165], v[82:83]
	s_waitcnt vmcnt(8) lgkmcnt(0)
	v_mul_f64 v[2:3], v[176:177], v[134:135]
	v_mul_f64 v[4:5], v[166:167], v[82:83]
	;; [unrolled: 1-line block ×3, first 2 shown]
	s_waitcnt vmcnt(7)
	v_mul_f64 v[10:11], v[168:169], v[126:127]
	s_waitcnt vmcnt(6)
	v_mul_f64 v[14:15], v[172:173], v[130:131]
	v_mul_f64 v[8:9], v[170:171], v[126:127]
	;; [unrolled: 1-line block ×3, first 2 shown]
	s_waitcnt vmcnt(1)
	v_mul_f64 v[16:17], v[136:137], v[118:119]
	s_waitcnt vmcnt(0)
	v_mul_f64 v[18:19], v[146:147], v[114:115]
	v_fma_f64 v[207:208], v[166:167], v[80:81], v[0:1]
	v_fma_f64 v[181:182], v[178:179], v[132:133], v[2:3]
	v_fma_f64 v[209:210], v[164:165], v[80:81], -v[4:5]
	v_fma_f64 v[164:165], v[176:177], v[132:133], -v[6:7]
	v_mul_f64 v[0:1], v[148:149], v[102:103]
	v_mul_f64 v[2:3], v[160:161], v[106:107]
	v_fma_f64 v[176:177], v[170:171], v[124:125], v[10:11]
	v_fma_f64 v[170:171], v[174:175], v[128:129], v[14:15]
	v_fma_f64 v[174:175], v[168:169], v[124:125], -v[8:9]
	v_fma_f64 v[44:45], v[172:173], v[128:129], -v[12:13]
	v_mul_f64 v[8:9], v[152:153], v[110:111]
	v_mul_f64 v[10:11], v[158:159], v[122:123]
	;; [unrolled: 1-line block ×6, first 2 shown]
	v_fma_f64 v[191:192], v[144:145], v[112:113], -v[18:19]
	v_fma_f64 v[203:204], v[138:139], v[116:117], v[16:17]
	v_add_f64 v[241:242], v[207:208], -v[181:182]
	v_add_f64 v[253:254], v[207:208], v[181:182]
	v_add_f64 v[245:246], v[209:210], v[164:165]
	v_fma_f64 v[172:173], v[150:151], v[100:101], v[0:1]
	v_fma_f64 v[162:163], v[162:163], v[104:105], v[2:3]
	v_mul_f64 v[2:3], v[138:139], v[118:119]
	v_add_f64 v[187:188], v[176:177], -v[170:171]
	v_add_f64 v[251:252], v[209:210], -v[164:165]
	;; [unrolled: 1-line block ×3, first 2 shown]
	v_fma_f64 v[185:186], v[154:155], v[108:109], v[8:9]
	v_fma_f64 v[154:155], v[156:157], v[120:121], -v[10:11]
	v_fma_f64 v[156:157], v[158:159], v[120:121], v[12:13]
	v_add_f64 v[158:159], v[174:175], v[44:45]
	v_fma_f64 v[178:179], v[152:153], v[108:109], -v[6:7]
	v_fma_f64 v[183:184], v[148:149], v[100:101], -v[4:5]
	v_mul_f64 v[4:5], v[144:145], v[114:115]
	v_fma_f64 v[152:153], v[160:161], v[104:105], -v[14:15]
	v_add_f64 v[160:161], v[176:177], v[170:171]
	v_mul_f64 v[249:250], v[241:242], s[14:15]
	v_mul_f64 v[26:27], v[241:242], s[2:3]
	;; [unrolled: 1-line block ×3, first 2 shown]
	v_add_f64 v[197:198], v[172:173], -v[162:163]
	v_fma_f64 v[199:200], v[136:137], v[116:117], -v[2:3]
	v_mul_f64 v[12:13], v[187:188], s[2:3]
	v_mul_f64 v[0:1], v[251:252], s[14:15]
	v_mul_f64 v[231:232], v[189:190], s[2:3]
	v_add_f64 v[219:220], v[172:173], v[162:163]
	v_mul_f64 v[28:29], v[251:252], s[2:3]
	v_add_f64 v[235:236], v[156:157], -v[203:204]
	v_add_f64 v[243:244], v[156:157], v[203:204]
	v_add_f64 v[193:194], v[178:179], v[191:192]
	v_add_f64 v[237:238], v[178:179], -v[191:192]
	v_fma_f64 v[195:196], v[146:147], v[112:113], v[4:5]
	v_add_f64 v[201:202], v[183:184], v[152:153]
	v_add_f64 v[239:240], v[183:184], -v[152:153]
	v_mul_f64 v[22:23], v[187:188], s[26:27]
	v_mul_f64 v[213:214], v[251:252], s[18:19]
	;; [unrolled: 1-line block ×3, first 2 shown]
	buffer_store_dword v12, off, s[40:43], 0 offset:244 ; 4-byte Folded Spill
	buffer_store_dword v13, off, s[40:43], 0 offset:248 ; 4-byte Folded Spill
	v_mul_f64 v[10:11], v[197:198], s[18:19]
	v_fma_f64 v[6:7], v[245:246], s[4:5], v[249:250]
	v_fma_f64 v[8:9], v[253:254], s[4:5], -v[0:1]
	v_add_f64 v[217:218], v[154:155], v[199:200]
	v_add_f64 v[233:234], v[154:155], -v[199:200]
	v_mul_f64 v[40:41], v[197:198], s[26:27]
	v_mul_f64 v[211:212], v[235:236], s[36:37]
	;; [unrolled: 1-line block ×3, first 2 shown]
	v_add_f64 v[215:216], v[185:186], -v[195:196]
	v_add_f64 v[225:226], v[185:186], v[195:196]
	v_mul_f64 v[20:21], v[239:240], s[34:35]
	v_mul_f64 v[42:43], v[235:236], s[24:25]
	buffer_store_dword v10, off, s[40:43], 0 offset:204 ; 4-byte Folded Spill
	buffer_store_dword v11, off, s[40:43], 0 offset:208 ; 4-byte Folded Spill
	v_add_f64 v[4:5], v[140:141], v[6:7]
	v_fma_f64 v[6:7], v[160:161], s[12:13], -v[231:232]
	v_add_f64 v[8:9], v[142:143], v[8:9]
	v_fma_f64 v[16:17], v[160:161], s[22:23], -v[24:25]
	v_mul_f64 v[205:206], v[215:216], s[14:15]
	v_add_f64 v[6:7], v[6:7], v[8:9]
	v_mul_f64 v[8:9], v[187:188], s[24:25]
	v_fma_f64 v[2:3], v[158:159], s[12:13], v[12:13]
	v_mul_f64 v[12:13], v[189:190], s[24:25]
	v_add_f64 v[2:3], v[2:3], v[4:5]
	v_fma_f64 v[4:5], v[201:202], s[16:17], v[10:11]
	v_fma_f64 v[10:11], v[201:202], s[22:23], v[40:41]
	v_add_f64 v[2:3], v[4:5], v[2:3]
	v_mul_f64 v[4:5], v[239:240], s[18:19]
	buffer_store_dword v4, off, s[40:43], 0 offset:220 ; 4-byte Folded Spill
	buffer_store_dword v5, off, s[40:43], 0 offset:224 ; 4-byte Folded Spill
	v_fma_f64 v[4:5], v[219:220], s[16:17], -v[4:5]
	v_add_f64 v[4:5], v[4:5], v[6:7]
	v_mul_f64 v[6:7], v[215:216], s[24:25]
	buffer_store_dword v6, off, s[40:43], 0 offset:196 ; 4-byte Folded Spill
	buffer_store_dword v7, off, s[40:43], 0 offset:200 ; 4-byte Folded Spill
	v_fma_f64 v[6:7], v[193:194], s[20:21], v[6:7]
	v_add_f64 v[2:3], v[6:7], v[2:3]
	v_mul_f64 v[6:7], v[237:238], s[24:25]
	buffer_store_dword v6, off, s[40:43], 0 offset:212 ; 4-byte Folded Spill
	buffer_store_dword v7, off, s[40:43], 0 offset:216 ; 4-byte Folded Spill
	v_fma_f64 v[6:7], v[225:226], s[20:21], -v[6:7]
	v_add_f64 v[4:5], v[6:7], v[4:5]
	v_mul_f64 v[6:7], v[235:236], s[28:29]
	buffer_store_dword v6, off, s[40:43], 0 offset:228 ; 4-byte Folded Spill
	buffer_store_dword v7, off, s[40:43], 0 offset:232 ; 4-byte Folded Spill
	v_fma_f64 v[6:7], v[217:218], s[22:23], v[6:7]
	v_add_f64 v[136:137], v[6:7], v[2:3]
	v_mul_f64 v[2:3], v[233:234], s[28:29]
	v_fma_f64 v[6:7], v[160:161], s[20:21], -v[12:13]
	buffer_store_dword v2, off, s[40:43], 0 offset:236 ; 4-byte Folded Spill
	buffer_store_dword v3, off, s[40:43], 0 offset:240 ; 4-byte Folded Spill
	v_fma_f64 v[2:3], v[243:244], s[22:23], -v[2:3]
	v_add_f64 v[138:139], v[2:3], v[4:5]
	v_fma_f64 v[2:3], v[245:246], s[12:13], v[26:27]
	v_fma_f64 v[4:5], v[158:159], s[20:21], v[8:9]
	v_add_f64 v[2:3], v[140:141], v[2:3]
	v_add_f64 v[2:3], v[4:5], v[2:3]
	v_fma_f64 v[4:5], v[253:254], s[12:13], -v[28:29]
	v_add_f64 v[2:3], v[10:11], v[2:3]
	v_add_f64 v[4:5], v[142:143], v[4:5]
	;; [unrolled: 1-line block ×3, first 2 shown]
	v_mul_f64 v[6:7], v[239:240], s[26:27]
	v_fma_f64 v[10:11], v[219:220], s[22:23], -v[6:7]
	v_add_f64 v[4:5], v[10:11], v[4:5]
	v_mul_f64 v[10:11], v[215:216], s[30:31]
	buffer_store_dword v10, off, s[40:43], 0 offset:252 ; 4-byte Folded Spill
	buffer_store_dword v11, off, s[40:43], 0 offset:256 ; 4-byte Folded Spill
	v_fma_f64 v[10:11], v[193:194], s[16:17], v[10:11]
	v_add_f64 v[10:11], v[10:11], v[2:3]
	v_mul_f64 v[2:3], v[237:238], s[30:31]
	buffer_store_dword v2, off, s[40:43], 0 offset:260 ; 4-byte Folded Spill
	buffer_store_dword v3, off, s[40:43], 0 offset:264 ; 4-byte Folded Spill
	v_fma_f64 v[2:3], v[225:226], s[16:17], -v[2:3]
	v_add_f64 v[14:15], v[2:3], v[4:5]
	v_fma_f64 v[4:5], v[217:218], s[4:5], v[211:212]
	v_add_f64 v[148:149], v[4:5], v[10:11]
	v_mul_f64 v[4:5], v[233:234], s[36:37]
	v_fma_f64 v[10:11], v[243:244], s[4:5], -v[4:5]
	v_add_f64 v[150:151], v[10:11], v[14:15]
	v_fma_f64 v[10:11], v[245:246], s[16:17], v[30:31]
	v_fma_f64 v[14:15], v[158:159], s[22:23], v[22:23]
	v_add_f64 v[10:11], v[140:141], v[10:11]
	v_add_f64 v[10:11], v[14:15], v[10:11]
	v_fma_f64 v[14:15], v[253:254], s[16:17], -v[213:214]
	v_add_f64 v[14:15], v[142:143], v[14:15]
	v_add_f64 v[14:15], v[16:17], v[14:15]
	v_fma_f64 v[16:17], v[201:202], s[12:13], v[18:19]
	v_add_f64 v[10:11], v[16:17], v[10:11]
	v_fma_f64 v[16:17], v[219:220], s[12:13], -v[20:21]
	v_add_f64 v[14:15], v[16:17], v[14:15]
	v_fma_f64 v[16:17], v[193:194], s[4:5], v[205:206]
	v_add_f64 v[144:145], v[16:17], v[10:11]
	v_mul_f64 v[16:17], v[237:238], s[14:15]
	v_fma_f64 v[10:11], v[225:226], s[4:5], -v[16:17]
	v_add_f64 v[146:147], v[10:11], v[14:15]
	v_fma_f64 v[14:15], v[217:218], s[20:21], v[42:43]
	v_add_f64 v[144:145], v[14:15], v[144:145]
	v_mul_f64 v[14:15], v[233:234], s[24:25]
	v_fma_f64 v[166:167], v[243:244], s[20:21], -v[14:15]
	v_add_f64 v[146:147], v[166:167], v[146:147]
	s_and_saveexec_b32 s33, s1
	s_cbranch_execz .LBB0_15
; %bb.14:
	buffer_store_dword v152, off, s[40:43], 0 offset:276 ; 4-byte Folded Spill
	buffer_store_dword v153, off, s[40:43], 0 offset:280 ; 4-byte Folded Spill
	buffer_store_dword v181, off, s[40:43], 0 offset:268 ; 4-byte Folded Spill
	buffer_store_dword v182, off, s[40:43], 0 offset:272 ; 4-byte Folded Spill
	buffer_store_dword v170, off, s[40:43], 0 offset:284 ; 4-byte Folded Spill
	buffer_store_dword v171, off, s[40:43], 0 offset:288 ; 4-byte Folded Spill
	s_clause 0x1
	buffer_load_dword v2, off, s[40:43], 0 offset:244
	buffer_load_dword v3, off, s[40:43], 0 offset:248
	v_mov_b32_e32 v152, v223
	v_mov_b32_e32 v223, v224
	;; [unrolled: 1-line block ×4, first 2 shown]
	v_mul_f64 v[166:167], v[253:254], s[22:23]
	v_mov_b32_e32 v181, v228
	v_mul_f64 v[227:228], v[253:254], s[20:21]
	s_mov_b32 s39, 0x3fe82f19
	s_mov_b32 s38, s24
	v_mov_b32_e32 v46, v164
	v_mov_b32_e32 v47, v165
	;; [unrolled: 1-line block ×4, first 2 shown]
	v_add_f64 v[207:208], v[142:143], v[207:208]
	v_add_f64 v[209:210], v[140:141], v[209:210]
	v_mov_b32_e32 v10, v162
	v_mov_b32_e32 v11, v163
	v_fma_f64 v[164:165], v[251:252], s[26:27], v[166:167]
	v_fma_f64 v[166:167], v[251:252], s[28:29], v[166:167]
	;; [unrolled: 1-line block ×4, first 2 shown]
	v_mul_f64 v[251:252], v[253:254], s[16:17]
	v_add_f64 v[176:177], v[207:208], v[176:177]
	v_mul_f64 v[207:208], v[160:161], s[4:5]
	v_add_f64 v[174:175], v[209:210], v[174:175]
	v_add_f64 v[164:165], v[142:143], v[164:165]
	v_add_f64 v[166:167], v[142:143], v[166:167]
	v_add_f64 v[229:230], v[142:143], v[229:230]
	v_add_f64 v[227:228], v[142:143], v[227:228]
	v_add_f64 v[213:214], v[213:214], v[251:252]
	v_mul_f64 v[251:252], v[253:254], s[12:13]
	v_add_f64 v[172:173], v[176:177], v[172:173]
	v_fma_f64 v[209:210], v[189:190], s[14:15], v[207:208]
	v_fma_f64 v[207:208], v[189:190], s[36:37], v[207:208]
	v_mul_f64 v[176:177], v[201:202], s[22:23]
	v_add_f64 v[174:175], v[174:175], v[183:184]
	v_add_f64 v[213:214], v[142:143], v[213:214]
	;; [unrolled: 1-line block ×3, first 2 shown]
	v_mul_f64 v[251:252], v[253:254], s[4:5]
	v_add_f64 v[172:173], v[172:173], v[185:186]
	v_add_f64 v[164:165], v[209:210], v[164:165]
	v_mul_f64 v[209:210], v[187:188], s[36:37]
	v_mul_f64 v[187:188], v[187:188], s[30:31]
	v_add_f64 v[166:167], v[207:208], v[166:167]
	v_add_f64 v[174:175], v[174:175], v[178:179]
	;; [unrolled: 1-line block ×4, first 2 shown]
	v_mul_f64 v[251:252], v[245:246], s[4:5]
	v_add_f64 v[156:157], v[172:173], v[156:157]
	v_mul_f64 v[172:173], v[201:202], s[16:17]
	v_add_f64 v[154:155], v[174:175], v[154:155]
	;; [unrolled: 2-line block ×3, first 2 shown]
	v_add_f64 v[249:250], v[251:252], -v[249:250]
	v_mul_f64 v[251:252], v[245:246], s[12:13]
	v_fma_f64 v[178:179], v[237:238], s[2:3], v[174:175]
	v_fma_f64 v[174:175], v[237:238], s[34:35], v[174:175]
	v_add_f64 v[142:143], v[140:141], v[249:250]
	v_add_f64 v[26:27], v[251:252], -v[26:27]
	v_mul_f64 v[251:252], v[245:246], s[16:17]
	v_add_f64 v[26:27], v[140:141], v[26:27]
	v_add_f64 v[30:31], v[251:252], -v[30:31]
	v_mul_f64 v[251:252], v[241:242], s[28:29]
	v_mul_f64 v[241:242], v[241:242], s[24:25]
	v_add_f64 v[30:31], v[140:141], v[30:31]
	v_fma_f64 v[253:254], v[245:246], s[22:23], v[251:252]
	v_fma_f64 v[251:252], v[245:246], s[22:23], -v[251:252]
	v_fma_f64 v[170:171], v[245:246], s[20:21], -v[241:242]
	v_fma_f64 v[241:242], v[245:246], s[20:21], v[241:242]
	v_add_f64 v[245:246], v[140:141], v[253:254]
	v_add_f64 v[251:252], v[140:141], v[251:252]
	;; [unrolled: 1-line block ×4, first 2 shown]
	v_mul_f64 v[241:242], v[160:161], s[16:17]
	v_fma_f64 v[253:254], v[158:159], s[16:17], -v[187:188]
	v_fma_f64 v[249:250], v[189:190], s[18:19], v[241:242]
	v_fma_f64 v[189:190], v[189:190], s[30:31], v[241:242]
	v_mul_f64 v[241:242], v[160:161], s[22:23]
	v_add_f64 v[185:186], v[189:190], v[227:228]
	v_add_f64 v[24:25], v[24:25], v[241:242]
	v_mul_f64 v[241:242], v[158:159], s[22:23]
	v_mov_b32_e32 v228, v181
	v_mov_b32_e32 v227, v180
	v_mul_f64 v[189:190], v[243:244], s[16:17]
	v_mov_b32_e32 v180, v224
	v_mov_b32_e32 v224, v223
	;; [unrolled: 1-line block ×3, first 2 shown]
	v_add_f64 v[24:25], v[24:25], v[213:214]
	v_add_f64 v[22:23], v[241:242], -v[22:23]
	v_mul_f64 v[241:242], v[160:161], s[20:21]
	v_mul_f64 v[160:161], v[160:161], s[12:13]
	v_add_f64 v[22:23], v[22:23], v[30:31]
	v_add_f64 v[12:13], v[12:13], v[241:242]
	v_mul_f64 v[241:242], v[158:159], s[20:21]
	v_add_f64 v[160:161], v[231:232], v[160:161]
	v_mul_f64 v[231:232], v[158:159], s[12:13]
	;; [unrolled: 2-line block ×3, first 2 shown]
	v_mul_f64 v[199:200], v[243:244], s[12:13]
	v_add_f64 v[12:13], v[12:13], v[28:29]
	v_add_f64 v[8:9], v[241:242], -v[8:9]
	v_fma_f64 v[241:242], v[158:159], s[4:5], v[209:210]
	s_waitcnt vmcnt(0)
	v_add_f64 v[231:232], v[231:232], -v[2:3]
	v_fma_f64 v[209:210], v[158:159], s[4:5], -v[209:210]
	v_fma_f64 v[158:159], v[158:159], s[16:17], v[187:188]
	v_mul_f64 v[187:188], v[219:220], s[20:21]
	v_mov_b32_e32 v2, v247
	v_mov_b32_e32 v3, v248
	v_mul_f64 v[247:248], v[219:220], s[4:5]
	v_add_f64 v[30:31], v[30:31], v[191:192]
	v_mul_f64 v[191:192], v[225:226], s[20:21]
	v_add_f64 v[0:1], v[160:161], v[0:1]
	;; [unrolled: 2-line block ×3, first 2 shown]
	v_add_f64 v[26:27], v[156:157], v[203:204]
	v_add_f64 v[28:29], v[231:232], v[142:143]
	;; [unrolled: 1-line block ×4, first 2 shown]
	v_fma_f64 v[168:169], v[239:240], s[38:39], v[187:188]
	v_fma_f64 v[187:188], v[239:240], s[24:25], v[187:188]
	v_add_f64 v[142:143], v[253:254], v[170:171]
	v_fma_f64 v[162:163], v[239:240], s[36:37], v[247:248]
	v_fma_f64 v[239:240], v[239:240], s[14:15], v[247:248]
	v_mul_f64 v[247:248], v[219:220], s[12:13]
	v_mul_f64 v[170:171], v[193:194], s[4:5]
	;; [unrolled: 1-line block ×3, first 2 shown]
	v_fma_f64 v[156:157], v[201:202], s[4:5], -v[154:155]
	v_add_f64 v[241:242], v[241:242], v[245:246]
	v_fma_f64 v[154:155], v[201:202], s[4:5], v[154:155]
	v_add_f64 v[26:27], v[26:27], v[195:196]
	v_mul_f64 v[195:196], v[193:194], s[20:21]
	v_add_f64 v[164:165], v[168:169], v[164:165]
	v_add_f64 v[166:167], v[187:188], v[166:167]
	v_mul_f64 v[187:188], v[219:220], s[22:23]
	v_mul_f64 v[168:169], v[197:198], s[24:25]
	;; [unrolled: 1-line block ×3, first 2 shown]
	v_add_f64 v[20:21], v[20:21], v[247:248]
	v_mul_f64 v[247:248], v[201:202], s[12:13]
	v_add_f64 v[170:171], v[170:171], -v[205:206]
	v_mul_f64 v[205:206], v[243:244], s[22:23]
	v_add_f64 v[140:141], v[154:155], v[140:141]
	v_fma_f64 v[154:155], v[233:234], s[2:3], v[199:200]
	v_add_f64 v[26:27], v[26:27], v[10:11]
	v_add_f64 v[164:165], v[178:179], v[164:165]
	v_mul_f64 v[178:179], v[215:216], s[34:35]
	v_add_f64 v[187:188], v[6:7], v[187:188]
	v_add_f64 v[6:7], v[176:177], -v[40:41]
	v_mul_f64 v[176:177], v[219:220], s[16:17]
	v_add_f64 v[166:167], v[174:175], v[166:167]
	v_add_f64 v[18:19], v[247:248], -v[18:19]
	v_mov_b32_e32 v248, v3
	v_mov_b32_e32 v247, v2
	s_clause 0x1
	buffer_load_dword v2, off, s[40:43], 0 offset:220
	buffer_load_dword v3, off, s[40:43], 0 offset:224
	v_add_f64 v[174:175], v[249:250], v[229:230]
	v_mov_b32_e32 v229, v182
	v_add_f64 v[20:21], v[20:21], v[24:25]
	v_mul_f64 v[24:25], v[193:194], s[16:17]
	v_fma_f64 v[209:210], v[201:202], s[20:21], v[168:169]
	v_fma_f64 v[168:169], v[201:202], s[20:21], -v[168:169]
	v_mul_f64 v[201:202], v[217:218], s[20:21]
	v_mov_b32_e32 v230, v153
	v_fma_f64 v[183:184], v[193:194], s[12:13], v[178:179]
	v_fma_f64 v[158:159], v[193:194], s[12:13], -v[178:179]
	v_add_f64 v[178:179], v[239:240], v[185:186]
	v_mul_f64 v[185:186], v[225:226], s[16:17]
	v_add_f64 v[12:13], v[187:188], v[12:13]
	v_add_f64 v[6:7], v[6:7], v[8:9]
	v_mul_f64 v[8:9], v[217:218], s[22:23]
	v_add_f64 v[18:19], v[18:19], v[22:23]
	v_add_f64 v[22:23], v[156:157], v[142:143]
	;; [unrolled: 1-line block ×3, first 2 shown]
	v_fma_f64 v[174:175], v[237:238], s[26:27], v[160:161]
	v_fma_f64 v[160:161], v[237:238], s[28:29], v[160:161]
	v_fma_f64 v[142:143], v[193:194], s[22:23], -v[197:198]
	v_mul_f64 v[156:157], v[235:236], s[34:35]
	v_add_f64 v[168:169], v[168:169], v[207:208]
	v_add_f64 v[209:210], v[209:210], v[241:242]
	v_fma_f64 v[193:194], v[193:194], s[22:23], v[197:198]
	v_add_f64 v[170:171], v[170:171], v[18:19]
	v_add_f64 v[152:153], v[174:175], v[162:163]
	v_add_f64 v[160:161], v[160:161], v[178:179]
	v_add_f64 v[174:175], v[201:202], -v[42:43]
	v_fma_f64 v[162:163], v[233:234], s[34:35], v[199:200]
	v_add_f64 v[158:159], v[158:159], v[168:169]
	v_mul_f64 v[168:169], v[225:226], s[4:5]
	v_add_f64 v[142:143], v[142:143], v[22:23]
	v_add_f64 v[183:184], v[183:184], v[209:210]
	;; [unrolled: 1-line block ×5, first 2 shown]
	v_mul_f64 v[168:169], v[235:236], s[18:19]
	v_add_f64 v[16:17], v[16:17], v[20:21]
	v_add_f64 v[20:21], v[4:5], v[203:204]
	v_fma_f64 v[187:188], v[217:218], s[16:17], v[168:169]
	v_fma_f64 v[168:169], v[217:218], s[16:17], -v[168:169]
	v_add_f64 v[4:5], v[168:169], v[158:159]
	s_waitcnt vmcnt(0)
	v_add_f64 v[176:177], v[2:3], v[176:177]
	s_clause 0x1
	buffer_load_dword v2, off, s[40:43], 0 offset:204
	buffer_load_dword v3, off, s[40:43], 0 offset:208
	v_add_f64 v[0:1], v[176:177], v[0:1]
	v_mul_f64 v[176:177], v[243:244], s[20:21]
	v_add_f64 v[14:15], v[14:15], v[176:177]
	v_add_f64 v[14:15], v[14:15], v[16:17]
	s_waitcnt vmcnt(0)
	v_add_f64 v[172:173], v[172:173], -v[2:3]
	s_clause 0x1
	buffer_load_dword v2, off, s[40:43], 0 offset:260
	buffer_load_dword v3, off, s[40:43], 0 offset:264
	v_add_f64 v[28:29], v[172:173], v[28:29]
	v_mul_f64 v[172:173], v[217:218], s[4:5]
	v_add_f64 v[172:173], v[172:173], -v[211:212]
	s_waitcnt vmcnt(0)
	v_add_f64 v[181:182], v[2:3], v[185:186]
	s_clause 0x1
	buffer_load_dword v2, off, s[40:43], 0 offset:252
	buffer_load_dword v3, off, s[40:43], 0 offset:256
	v_fma_f64 v[185:186], v[233:234], s[30:31], v[189:190]
	v_fma_f64 v[189:190], v[233:234], s[18:19], v[189:190]
	v_add_f64 v[12:13], v[181:182], v[12:13]
	v_fma_f64 v[181:182], v[217:218], s[12:13], -v[156:157]
	v_fma_f64 v[156:157], v[217:218], s[12:13], v[156:157]
	v_add_f64 v[18:19], v[20:21], v[12:13]
	v_add_f64 v[12:13], v[174:175], v[170:171]
	s_waitcnt vmcnt(0)
	v_add_f64 v[24:25], v[24:25], -v[2:3]
	s_clause 0x1
	buffer_load_dword v2, off, s[40:43], 0 offset:212
	buffer_load_dword v3, off, s[40:43], 0 offset:216
	v_add_f64 v[24:25], v[24:25], v[6:7]
	v_add_f64 v[6:7], v[189:190], v[166:167]
	;; [unrolled: 1-line block ×4, first 2 shown]
	s_waitcnt vmcnt(0)
	v_add_f64 v[191:192], v[2:3], v[191:192]
	s_clause 0x1
	buffer_load_dword v2, off, s[40:43], 0 offset:196
	buffer_load_dword v3, off, s[40:43], 0 offset:200
	v_add_f64 v[178:179], v[191:192], v[0:1]
	s_waitcnt vmcnt(0)
	v_add_f64 v[195:196], v[195:196], -v[2:3]
	s_clause 0x1
	buffer_load_dword v2, off, s[40:43], 0 offset:276
	buffer_load_dword v3, off, s[40:43], 0 offset:280
	v_add_f64 v[28:29], v[195:196], v[28:29]
	s_waitcnt vmcnt(0)
	v_add_f64 v[30:31], v[30:31], v[2:3]
	s_clause 0x3
	buffer_load_dword v2, off, s[40:43], 0 offset:236
	buffer_load_dword v3, off, s[40:43], 0 offset:240
	;; [unrolled: 1-line block ×4, first 2 shown]
	v_add_f64 v[193:194], v[30:31], v[44:45]
	s_waitcnt vmcnt(2)
	v_add_f64 v[176:177], v[2:3], v[205:206]
	s_waitcnt vmcnt(0)
	v_add_f64 v[8:9], v[8:9], -v[0:1]
	s_clause 0x1
	buffer_load_dword v0, off, s[40:43], 0 offset:284
	buffer_load_dword v1, off, s[40:43], 0 offset:288
	v_add_f64 v[2:3], v[185:186], v[164:165]
	v_add_f64 v[22:23], v[176:177], v[178:179]
	;; [unrolled: 1-line block ×3, first 2 shown]
	s_clause 0x1
	buffer_load_dword v28, off, s[40:43], 0 offset:268
	buffer_load_dword v29, off, s[40:43], 0 offset:272
	v_add_f64 v[8:9], v[181:182], v[142:143]
	s_waitcnt vmcnt(2)
	v_add_f64 v[191:192], v[26:27], v[0:1]
	v_add_f64 v[0:1], v[187:188], v[183:184]
	;; [unrolled: 1-line block ×3, first 2 shown]
	s_waitcnt vmcnt(0)
	v_add_f64 v[30:31], v[191:192], v[28:29]
	v_add_f64 v[28:29], v[193:194], v[46:47]
	ds_write_b128 v255, v[144:147] offset:11520
	ds_write_b128 v255, v[20:23] offset:1440
	;; [unrolled: 1-line block ×8, first 2 shown]
	ds_write_b128 v255, v[28:31]
	ds_write_b128 v255, v[148:151] offset:12960
	ds_write_b128 v255, v[136:139] offset:14400
.LBB0_15:
	s_or_b32 exec_lo, exec_lo, s33
	v_add_co_u32 v0, s2, 0x3de0, v221
	v_add_co_ci_u32_e64 v1, s2, 0, v222, s2
	v_add_co_u32 v183, s2, 0x3800, v221
	v_add_co_ci_u32_e64 v184, s2, 0, v222, s2
	;; [unrolled: 2-line block ×7, first 2 shown]
	v_add_co_u32 v30, s2, 0x7000, v221
	s_waitcnt lgkmcnt(0)
	s_waitcnt_vscnt null, 0x0
	s_barrier
	buffer_gl0_inv
	s_clause 0x4
	global_load_dwordx4 v[2:5], v[183:184], off offset:1504
	global_load_dwordx4 v[6:9], v[6:7], off offset:1232
	;; [unrolled: 1-line block ×5, first 2 shown]
	v_add_co_ci_u32_e64 v31, s2, 0, v222, s2
	s_clause 0x2
	global_load_dwordx4 v[22:25], v[22:23], off offset:656
	global_load_dwordx4 v[26:29], v[26:27], off offset:640
	;; [unrolled: 1-line block ×3, first 2 shown]
	ds_read_b128 v[152:155], v255
	ds_read_b128 v[156:159], v255 offset:7920
	ds_read_b128 v[160:163], v255 offset:1760
	;; [unrolled: 1-line block ×7, first 2 shown]
	s_waitcnt vmcnt(7) lgkmcnt(7)
	v_mul_f64 v[30:31], v[154:155], v[4:5]
	v_mul_f64 v[4:5], v[152:153], v[4:5]
	s_waitcnt vmcnt(6) lgkmcnt(6)
	v_mul_f64 v[181:182], v[158:159], v[8:9]
	v_mul_f64 v[8:9], v[156:157], v[8:9]
	;; [unrolled: 3-line block ×8, first 2 shown]
	v_fma_f64 v[28:29], v[152:153], v[2:3], -v[30:31]
	v_fma_f64 v[30:31], v[154:155], v[2:3], v[4:5]
	v_fma_f64 v[2:3], v[156:157], v[6:7], -v[181:182]
	v_fma_f64 v[4:5], v[158:159], v[6:7], v[8:9]
	;; [unrolled: 2-line block ×8, first 2 shown]
	ds_write_b128 v255, v[28:31]
	ds_write_b128 v255, v[2:5] offset:7920
	ds_write_b128 v255, v[6:9] offset:1760
	;; [unrolled: 1-line block ×7, first 2 shown]
	s_and_saveexec_b32 s3, vcc_lo
	s_cbranch_execz .LBB0_17
; %bb.16:
	v_add_co_u32 v2, s2, 0x1800, v0
	v_add_co_ci_u32_e64 v3, s2, 0, v1, s2
	v_add_co_u32 v4, s2, 0x3800, v0
	v_add_co_ci_u32_e64 v5, s2, 0, v1, s2
	s_clause 0x1
	global_load_dwordx4 v[0:3], v[2:3], off offset:896
	global_load_dwordx4 v[4:7], v[4:5], off offset:624
	ds_read_b128 v[8:11], v255 offset:7040
	ds_read_b128 v[12:15], v255 offset:14960
	s_waitcnt vmcnt(1) lgkmcnt(1)
	v_mul_f64 v[16:17], v[10:11], v[2:3]
	v_mul_f64 v[2:3], v[8:9], v[2:3]
	s_waitcnt vmcnt(0) lgkmcnt(0)
	v_mul_f64 v[18:19], v[14:15], v[6:7]
	v_mul_f64 v[20:21], v[12:13], v[6:7]
	v_fma_f64 v[6:7], v[8:9], v[0:1], -v[16:17]
	v_fma_f64 v[8:9], v[10:11], v[0:1], v[2:3]
	v_fma_f64 v[0:1], v[12:13], v[4:5], -v[18:19]
	v_fma_f64 v[2:3], v[14:15], v[4:5], v[20:21]
	ds_write_b128 v255, v[6:9] offset:7040
	ds_write_b128 v255, v[0:3] offset:14960
.LBB0_17:
	s_or_b32 exec_lo, exec_lo, s3
	s_waitcnt lgkmcnt(0)
	s_barrier
	buffer_gl0_inv
	ds_read_b128 v[152:155], v255
	ds_read_b128 v[156:159], v255 offset:1760
	ds_read_b128 v[176:179], v255 offset:7920
	;; [unrolled: 1-line block ×7, first 2 shown]
	buffer_load_dword v0, off, s[40:43], 0 offset:132 ; 4-byte Folded Reload
	s_waitcnt vmcnt(0)
	v_add_nc_u32_e32 v0, 0x2940, v0
	s_and_saveexec_b32 s2, vcc_lo
	s_cbranch_execz .LBB0_19
; %bb.18:
	ds_read_b128 v[144:147], v255 offset:7040
	ds_read_b128 v[148:151], v255 offset:14960
.LBB0_19:
	s_or_b32 exec_lo, exec_lo, s2
	s_waitcnt lgkmcnt(5)
	v_add_f64 v[1:2], v[152:153], -v[176:177]
	v_add_f64 v[3:4], v[154:155], -v[178:179]
	s_waitcnt lgkmcnt(4)
	v_add_f64 v[5:6], v[156:157], -v[172:173]
	v_add_f64 v[7:8], v[158:159], -v[174:175]
	s_waitcnt lgkmcnt(0)
	s_barrier
	buffer_gl0_inv
	v_add_f64 v[13:14], v[140:141], -v[164:165]
	v_add_f64 v[15:16], v[142:143], -v[166:167]
	;; [unrolled: 1-line block ×4, first 2 shown]
	ds_write_b128 v230, v[1:4] offset:16
	ds_write_b128 v248, v[5:8] offset:16
	v_fma_f64 v[17:18], v[152:153], 2.0, -v[1:2]
	buffer_load_dword v1, off, s[40:43], 0 offset:128 ; 4-byte Folded Reload
	v_fma_f64 v[19:20], v[154:155], 2.0, -v[3:4]
	v_fma_f64 v[21:22], v[156:157], 2.0, -v[5:6]
	;; [unrolled: 1-line block ×4, first 2 shown]
	v_add_f64 v[140:141], v[144:145], -v[148:149]
	v_add_f64 v[142:143], v[146:147], -v[150:151]
	v_fma_f64 v[23:24], v[158:159], 2.0, -v[7:8]
	v_fma_f64 v[25:26], v[160:161], 2.0, -v[9:10]
	;; [unrolled: 1-line block ×3, first 2 shown]
	s_waitcnt vmcnt(0)
	ds_write_b128 v1, v[9:12] offset:16
	ds_write_b128 v230, v[17:20]
	ds_write_b128 v248, v[21:24]
	;; [unrolled: 1-line block ×4, first 2 shown]
	ds_write_b128 v0, v[13:16] offset:16
	s_and_saveexec_b32 s2, vcc_lo
	s_cbranch_execz .LBB0_21
; %bb.20:
	v_fma_f64 v[2:3], v[146:147], 2.0, -v[142:143]
	v_fma_f64 v[0:1], v[144:145], 2.0, -v[140:141]
	ds_write_b128 v247, v[0:3]
	ds_write_b128 v247, v[140:143] offset:16
.LBB0_21:
	s_or_b32 exec_lo, exec_lo, s2
	s_waitcnt lgkmcnt(0)
	s_barrier
	buffer_gl0_inv
	ds_read_b128 v[0:3], v255 offset:5280
	ds_read_b128 v[4:7], v255 offset:10560
	;; [unrolled: 1-line block ×7, first 2 shown]
	s_mov_b32 s2, 0xe8584caa
	s_mov_b32 s3, 0xbfebb67a
	s_mov_b32 s5, 0x3febb67a
	s_mov_b32 s4, s2
	s_waitcnt lgkmcnt(6)
	v_mul_f64 v[28:29], v[38:39], v[2:3]
	v_mul_f64 v[144:145], v[38:39], v[0:1]
	s_waitcnt lgkmcnt(4)
	v_mul_f64 v[148:149], v[38:39], v[10:11]
	s_waitcnt lgkmcnt(3)
	v_mul_f64 v[150:151], v[34:35], v[14:15]
	v_mul_f64 v[152:153], v[38:39], v[8:9]
	;; [unrolled: 1-line block ×3, first 2 shown]
	s_waitcnt lgkmcnt(2)
	v_mul_f64 v[156:157], v[38:39], v[18:19]
	s_waitcnt lgkmcnt(1)
	v_mul_f64 v[158:159], v[34:35], v[22:23]
	v_mul_f64 v[38:39], v[38:39], v[16:17]
	v_mul_f64 v[30:31], v[34:35], v[6:7]
	v_mul_f64 v[146:147], v[34:35], v[4:5]
	v_mul_f64 v[34:35], v[34:35], v[20:21]
	v_fma_f64 v[28:29], v[36:37], v[0:1], v[28:29]
	v_fma_f64 v[144:145], v[36:37], v[2:3], -v[144:145]
	v_fma_f64 v[8:9], v[36:37], v[8:9], v[148:149]
	v_fma_f64 v[12:13], v[32:33], v[12:13], v[150:151]
	v_fma_f64 v[10:11], v[36:37], v[10:11], -v[152:153]
	v_fma_f64 v[14:15], v[32:33], v[14:15], -v[154:155]
	v_fma_f64 v[16:17], v[36:37], v[16:17], v[156:157]
	v_fma_f64 v[20:21], v[32:33], v[20:21], v[158:159]
	v_fma_f64 v[18:19], v[36:37], v[18:19], -v[38:39]
	v_fma_f64 v[30:31], v[32:33], v[4:5], v[30:31]
	v_fma_f64 v[146:147], v[32:33], v[6:7], -v[146:147]
	ds_read_b128 v[0:3], v255
	ds_read_b128 v[4:7], v255 offset:1760
	s_waitcnt lgkmcnt(0)
	s_barrier
	buffer_gl0_inv
	v_fma_f64 v[22:23], v[32:33], v[22:23], -v[34:35]
	v_add_f64 v[36:37], v[8:9], v[12:13]
	v_add_f64 v[166:167], v[8:9], -v[12:13]
	v_add_f64 v[164:165], v[10:11], -v[14:15]
	v_add_f64 v[160:161], v[24:25], v[16:17]
	v_add_f64 v[148:149], v[16:17], v[20:21]
	v_add_f64 v[170:171], v[16:17], -v[20:21]
	v_add_f64 v[156:157], v[4:5], v[8:9]
	v_add_f64 v[32:33], v[28:29], v[30:31]
	;; [unrolled: 1-line block ×4, first 2 shown]
	v_add_f64 v[154:155], v[144:145], -v[146:147]
	v_add_f64 v[144:145], v[2:3], v[144:145]
	v_add_f64 v[38:39], v[10:11], v[14:15]
	;; [unrolled: 1-line block ×3, first 2 shown]
	v_add_f64 v[28:29], v[28:29], -v[30:31]
	v_add_f64 v[150:151], v[18:19], v[22:23]
	v_add_f64 v[162:163], v[26:27], v[18:19]
	v_add_f64 v[168:169], v[18:19], -v[22:23]
	v_fma_f64 v[36:37], v[36:37], -0.5, v[4:5]
	v_add_f64 v[8:9], v[160:161], v[20:21]
	v_fma_f64 v[148:149], v[148:149], -0.5, v[24:25]
	v_add_f64 v[4:5], v[156:157], v[12:13]
	v_fma_f64 v[32:33], v[32:33], -0.5, v[0:1]
	v_fma_f64 v[34:35], v[34:35], -0.5, v[2:3]
	v_add_f64 v[0:1], v[152:153], v[30:31]
	v_add_f64 v[2:3], v[144:145], v[146:147]
	v_fma_f64 v[38:39], v[38:39], -0.5, v[6:7]
	v_add_f64 v[6:7], v[158:159], v[14:15]
	v_fma_f64 v[150:151], v[150:151], -0.5, v[26:27]
	v_add_f64 v[10:11], v[162:163], v[22:23]
	v_fma_f64 v[20:21], v[164:165], s[2:3], v[36:37]
	v_fma_f64 v[24:25], v[164:165], s[4:5], v[36:37]
	buffer_load_dword v36, off, s[40:43], 0 offset:156 ; 4-byte Folded Reload
	v_fma_f64 v[12:13], v[154:155], s[2:3], v[32:33]
	v_fma_f64 v[14:15], v[28:29], s[4:5], v[34:35]
	;; [unrolled: 1-line block ×10, first 2 shown]
	s_waitcnt vmcnt(0)
	ds_write_b128 v36, v[0:3]
	ds_write_b128 v36, v[12:15] offset:32
	ds_write_b128 v36, v[16:19] offset:64
	buffer_load_dword v0, off, s[40:43], 0 offset:152 ; 4-byte Folded Reload
	s_waitcnt vmcnt(0)
	ds_write_b128 v0, v[4:7]
	ds_write_b128 v0, v[20:23] offset:32
	ds_write_b128 v0, v[24:27] offset:64
	buffer_load_dword v0, off, s[40:43], 0 offset:148 ; 4-byte Folded Reload
	s_waitcnt vmcnt(0)
	ds_write_b128 v0, v[8:11]
	ds_write_b128 v0, v[28:31] offset:32
	ds_write_b128 v0, v[32:35] offset:64
	s_waitcnt lgkmcnt(0)
	s_barrier
	buffer_gl0_inv
	ds_read_b128 v[0:3], v255 offset:5280
	ds_read_b128 v[4:7], v255 offset:10560
	;; [unrolled: 1-line block ×7, first 2 shown]
	s_clause 0x7
	buffer_load_dword v40, off, s[40:43], 0 offset:164
	buffer_load_dword v41, off, s[40:43], 0 offset:168
	;; [unrolled: 1-line block ×8, first 2 shown]
	s_waitcnt lgkmcnt(6)
	v_mul_f64 v[28:29], v[54:55], v[2:3]
	v_mul_f64 v[32:33], v[54:55], v[0:1]
	s_waitcnt lgkmcnt(4)
	v_mul_f64 v[36:37], v[50:51], v[10:11]
	s_waitcnt lgkmcnt(1)
	v_mul_f64 v[54:55], v[58:59], v[22:23]
	v_mul_f64 v[58:59], v[58:59], v[20:21]
	v_fma_f64 v[28:29], v[52:53], v[0:1], v[28:29]
	v_fma_f64 v[32:33], v[52:53], v[2:3], -v[32:33]
	v_fma_f64 v[20:21], v[56:57], v[20:21], v[54:55]
	v_fma_f64 v[22:23], v[56:57], v[22:23], -v[58:59]
	s_waitcnt vmcnt(4)
	v_mul_f64 v[30:31], v[42:43], v[6:7]
	v_mul_f64 v[34:35], v[42:43], v[4:5]
	s_waitcnt vmcnt(0)
	v_mul_f64 v[38:39], v[46:47], v[14:15]
	v_mul_f64 v[42:43], v[50:51], v[8:9]
	;; [unrolled: 1-line block ×5, first 2 shown]
	v_fma_f64 v[8:9], v[48:49], v[8:9], v[36:37]
	v_fma_f64 v[30:31], v[40:41], v[4:5], v[30:31]
	v_fma_f64 v[34:35], v[40:41], v[6:7], -v[34:35]
	v_fma_f64 v[12:13], v[44:45], v[12:13], v[38:39]
	ds_read_b128 v[0:3], v255
	ds_read_b128 v[4:7], v255 offset:1760
	v_fma_f64 v[16:17], v[60:61], v[16:17], v[50:51]
	v_fma_f64 v[14:15], v[44:45], v[14:15], -v[46:47]
	v_fma_f64 v[18:19], v[60:61], v[18:19], -v[62:63]
	s_waitcnt lgkmcnt(0)
	s_barrier
	buffer_gl0_inv
	v_fma_f64 v[10:11], v[48:49], v[10:11], -v[42:43]
	v_add_f64 v[48:49], v[0:1], v[28:29]
	v_add_f64 v[36:37], v[28:29], v[30:31]
	;; [unrolled: 1-line block ×6, first 2 shown]
	v_add_f64 v[150:151], v[16:17], -v[20:21]
	v_add_f64 v[50:51], v[32:33], -v[34:35]
	v_add_f64 v[32:33], v[2:3], v[32:33]
	v_add_f64 v[28:29], v[28:29], -v[30:31]
	v_add_f64 v[42:43], v[10:11], v[14:15]
	v_add_f64 v[52:53], v[4:5], v[8:9]
	v_add_f64 v[54:55], v[6:7], v[10:11]
	v_add_f64 v[60:61], v[10:11], -v[14:15]
	v_add_f64 v[144:145], v[8:9], -v[12:13]
	v_add_f64 v[46:47], v[18:19], v[22:23]
	v_add_f64 v[58:59], v[26:27], v[18:19]
	v_add_f64 v[148:149], v[18:19], -v[22:23]
	v_fma_f64 v[36:37], v[36:37], -0.5, v[0:1]
	v_fma_f64 v[62:63], v[40:41], -0.5, v[4:5]
	;; [unrolled: 1-line block ×3, first 2 shown]
	v_add_f64 v[40:41], v[56:57], v[20:21]
	buffer_load_dword v20, off, s[40:43], 0 offset:144 ; 4-byte Folded Reload
	v_add_f64 v[0:1], v[48:49], v[30:31]
	v_fma_f64 v[24:25], v[44:45], -0.5, v[24:25]
	v_add_f64 v[2:3], v[32:33], v[34:35]
	v_fma_f64 v[146:147], v[42:43], -0.5, v[6:7]
	v_add_f64 v[4:5], v[52:53], v[12:13]
	v_add_f64 v[6:7], v[54:55], v[14:15]
	v_fma_f64 v[26:27], v[46:47], -0.5, v[26:27]
	v_add_f64 v[42:43], v[58:59], v[22:23]
	v_fma_f64 v[8:9], v[50:51], s[2:3], v[36:37]
	v_fma_f64 v[12:13], v[50:51], s[4:5], v[36:37]
	v_fma_f64 v[10:11], v[28:29], s[4:5], v[38:39]
	v_fma_f64 v[14:15], v[28:29], s[2:3], v[38:39]
	v_fma_f64 v[16:17], v[60:61], s[2:3], v[62:63]
	v_fma_f64 v[32:33], v[60:61], s[4:5], v[62:63]
	v_fma_f64 v[44:45], v[148:149], s[2:3], v[24:25]
	v_fma_f64 v[48:49], v[148:149], s[4:5], v[24:25]
	s_waitcnt vmcnt(0)
	ds_write_b128 v20, v[0:3]
	ds_write_b128 v20, v[8:11] offset:96
	ds_write_b128 v20, v[12:15] offset:192
	buffer_load_dword v0, off, s[40:43], 0 offset:140 ; 4-byte Folded Reload
	v_fma_f64 v[18:19], v[144:145], s[4:5], v[146:147]
	v_fma_f64 v[34:35], v[144:145], s[2:3], v[146:147]
	;; [unrolled: 1-line block ×4, first 2 shown]
	s_waitcnt vmcnt(0)
	ds_write_b128 v0, v[4:7]
	ds_write_b128 v0, v[16:19] offset:96
	ds_write_b128 v0, v[32:35] offset:192
	buffer_load_dword v0, off, s[40:43], 0 offset:136 ; 4-byte Folded Reload
	s_waitcnt vmcnt(0)
	ds_write_b128 v0, v[40:43]
	ds_write_b128 v0, v[44:47] offset:96
	ds_write_b128 v0, v[48:51] offset:192
	s_waitcnt lgkmcnt(0)
	s_barrier
	buffer_gl0_inv
	ds_read_b128 v[36:39], v255
	ds_read_b128 v[144:147], v255 offset:3168
	ds_read_b128 v[60:63], v255 offset:6336
	;; [unrolled: 1-line block ×4, first 2 shown]
	s_and_saveexec_b32 s2, s0
	s_cbranch_execz .LBB0_23
; %bb.22:
	ds_read_b128 v[32:35], v255 offset:1760
	ds_read_b128 v[40:43], v255 offset:4928
	;; [unrolled: 1-line block ×5, first 2 shown]
.LBB0_23:
	s_or_b32 exec_lo, exec_lo, s2
	s_waitcnt lgkmcnt(3)
	v_mul_f64 v[2:3], v[98:99], v[144:145]
	s_waitcnt lgkmcnt(2)
	v_mul_f64 v[6:7], v[94:95], v[60:61]
	;; [unrolled: 2-line block ×3, first 2 shown]
	v_mul_f64 v[14:15], v[86:87], v[52:53]
	v_mul_f64 v[0:1], v[98:99], v[146:147]
	;; [unrolled: 1-line block ×13, first 2 shown]
	s_mov_b32 s4, 0x134454ff
	s_mov_b32 s5, 0xbfee6f0e
	;; [unrolled: 1-line block ×6, first 2 shown]
	v_fma_f64 v[2:3], v[96:97], v[146:147], -v[2:3]
	v_fma_f64 v[6:7], v[92:93], v[62:63], -v[6:7]
	;; [unrolled: 1-line block ×4, first 2 shown]
	v_fma_f64 v[0:1], v[96:97], v[144:145], v[0:1]
	v_fma_f64 v[4:5], v[92:93], v[60:61], v[4:5]
	;; [unrolled: 1-line block ×7, first 2 shown]
	v_fma_f64 v[22:23], v[64:65], v[42:43], -v[22:23]
	v_fma_f64 v[24:25], v[76:77], v[46:47], -v[24:25]
	v_fma_f64 v[26:27], v[68:69], v[140:141], v[26:27]
	v_fma_f64 v[28:29], v[72:73], v[50:51], -v[28:29]
	v_fma_f64 v[30:31], v[68:69], v[142:143], -v[30:31]
	s_mov_b32 s13, 0x3fe2cf23
	s_mov_b32 s12, s2
	s_barrier
	buffer_gl0_inv
	v_add_f64 v[62:63], v[38:39], v[2:3]
	v_add_f64 v[68:69], v[2:3], -v[6:7]
	v_add_f64 v[58:59], v[2:3], v[10:11]
	v_add_f64 v[52:53], v[6:7], v[14:15]
	;; [unrolled: 1-line block ×3, first 2 shown]
	v_add_f64 v[50:51], v[0:1], -v[4:5]
	v_add_f64 v[42:43], v[4:5], v[8:9]
	v_add_f64 v[46:47], v[0:1], v[12:13]
	v_add_f64 v[54:55], v[12:13], -v[8:9]
	v_add_f64 v[56:57], v[4:5], -v[0:1]
	v_add_f64 v[64:65], v[18:19], v[20:21]
	v_add_f64 v[0:1], v[0:1], -v[12:13]
	v_add_f64 v[66:67], v[4:5], -v[8:9]
	v_add_f64 v[70:71], v[16:17], v[26:27]
	v_add_f64 v[74:75], v[24:25], v[28:29]
	;; [unrolled: 1-line block ×3, first 2 shown]
	v_add_f64 v[44:45], v[2:3], -v[10:11]
	v_add_f64 v[48:49], v[6:7], -v[14:15]
	;; [unrolled: 1-line block ×3, first 2 shown]
	v_add_f64 v[84:85], v[32:33], v[16:17]
	v_add_f64 v[86:87], v[22:23], -v[30:31]
	v_add_f64 v[88:89], v[16:17], -v[18:19]
	;; [unrolled: 1-line block ×3, first 2 shown]
	v_add_f64 v[94:95], v[34:35], v[22:23]
	v_add_f64 v[16:17], v[16:17], -v[26:27]
	v_fma_f64 v[52:53], v[52:53], -0.5, v[38:39]
	v_fma_f64 v[38:39], v[58:59], -0.5, v[38:39]
	v_add_f64 v[96:97], v[18:19], -v[20:21]
	v_fma_f64 v[42:43], v[42:43], -0.5, v[36:37]
	v_fma_f64 v[36:37], v[46:47], -0.5, v[36:37]
	v_add_f64 v[46:47], v[24:25], -v[28:29]
	v_add_f64 v[4:5], v[40:41], v[4:5]
	v_fma_f64 v[64:65], v[64:65], -0.5, v[32:33]
	v_add_f64 v[72:73], v[10:11], -v[14:15]
	v_add_f64 v[2:3], v[6:7], -v[2:3]
	v_fma_f64 v[32:33], v[70:71], -0.5, v[32:33]
	v_fma_f64 v[70:71], v[74:75], -0.5, v[34:35]
	;; [unrolled: 1-line block ×3, first 2 shown]
	v_add_f64 v[76:77], v[14:15], -v[10:11]
	v_add_f64 v[6:7], v[62:63], v[6:7]
	v_add_f64 v[50:51], v[50:51], v[54:55]
	v_add_f64 v[98:99], v[22:23], -v[24:25]
	v_add_f64 v[22:23], v[24:25], -v[22:23]
	v_add_f64 v[56:57], v[56:57], v[60:61]
	v_add_f64 v[18:19], v[84:85], v[18:19]
	;; [unrolled: 1-line block ×3, first 2 shown]
	v_add_f64 v[90:91], v[26:27], -v[20:21]
	v_fma_f64 v[62:63], v[0:1], s[14:15], v[52:53]
	v_fma_f64 v[54:55], v[66:67], s[4:5], v[38:39]
	;; [unrolled: 1-line block ×8, first 2 shown]
	v_add_f64 v[4:5], v[4:5], v[8:9]
	v_add_f64 v[58:59], v[20:21], -v[26:27]
	v_fma_f64 v[84:85], v[46:47], s[14:15], v[32:33]
	v_fma_f64 v[8:9], v[46:47], s[4:5], v[32:33]
	;; [unrolled: 1-line block ×6, first 2 shown]
	v_add_f64 v[6:7], v[6:7], v[14:15]
	v_add_f64 v[2:3], v[2:3], v[76:77]
	v_fma_f64 v[36:37], v[48:49], s[4:5], v[36:37]
	v_add_f64 v[18:19], v[18:19], v[20:21]
	v_add_f64 v[40:41], v[30:31], -v[28:29]
	v_add_f64 v[74:75], v[28:29], -v[30:31]
	v_fma_f64 v[14:15], v[66:67], s[12:13], v[62:63]
	v_add_f64 v[62:63], v[68:69], v[72:73]
	v_fma_f64 v[68:69], v[0:1], s[12:13], v[54:55]
	v_fma_f64 v[0:1], v[0:1], s[2:3], v[38:39]
	;; [unrolled: 1-line block ×9, first 2 shown]
	v_add_f64 v[60:61], v[88:89], v[90:91]
	v_add_f64 v[58:59], v[92:93], v[58:59]
	v_fma_f64 v[70:71], v[96:97], s[2:3], v[70:71]
	v_fma_f64 v[84:85], v[16:17], s[12:13], v[94:95]
	;; [unrolled: 1-line block ×3, first 2 shown]
	s_mov_b32 s2, 0x372fe950
	s_mov_b32 s3, 0x3fd3c6ef
	v_fma_f64 v[36:37], v[44:45], s[12:13], v[36:37]
	v_fma_f64 v[8:9], v[86:87], s[12:13], v[8:9]
	v_add_f64 v[24:25], v[24:25], v[28:29]
	v_fma_f64 v[28:29], v[96:97], s[12:13], v[32:33]
	v_add_f64 v[76:77], v[98:99], v[40:41]
	v_add_f64 v[22:23], v[22:23], v[74:75]
	v_add_f64 v[32:33], v[4:5], v[12:13]
	v_fma_f64 v[38:39], v[2:3], s[2:3], v[0:1]
	buffer_load_dword v0, off, s[40:43], 0 offset:160 ; 4-byte Folded Reload
	v_fma_f64 v[52:53], v[50:51], s[2:3], v[78:79]
	v_fma_f64 v[40:41], v[50:51], s[2:3], v[42:43]
	v_fma_f64 v[44:45], v[56:57], s[2:3], v[48:49]
	v_add_f64 v[34:35], v[6:7], v[10:11]
	v_fma_f64 v[64:65], v[46:47], s[12:13], v[64:65]
	v_fma_f64 v[54:55], v[62:63], s[2:3], v[14:15]
	;; [unrolled: 1-line block ×4, first 2 shown]
	v_add_f64 v[48:49], v[18:19], v[26:27]
	v_fma_f64 v[36:37], v[56:57], s[2:3], v[36:37]
	v_fma_f64 v[56:57], v[60:61], s[2:3], v[20:21]
	v_add_f64 v[50:51], v[24:25], v[30:31]
	s_waitcnt vmcnt(0)
	ds_write_b128 v0, v[32:35]
	ds_write_b128 v0, v[52:55] offset:288
	ds_write_b128 v0, v[44:47] offset:576
	ds_write_b128 v0, v[36:39] offset:864
	ds_write_b128 v0, v[40:43] offset:1152
	v_fma_f64 v[68:69], v[60:61], s[2:3], v[64:65]
	v_fma_f64 v[60:61], v[58:59], s[2:3], v[72:73]
	;; [unrolled: 1-line block ×7, first 2 shown]
	s_and_saveexec_b32 s2, s0
	s_cbranch_execz .LBB0_25
; %bb.24:
	v_mov_b32_e32 v0, 0x5a
	v_mul_u32_u24_sdwa v0, v180, v0 dst_sel:DWORD dst_unused:UNUSED_PAD src0_sel:WORD_0 src1_sel:DWORD
	v_add_lshl_u32 v0, v0, v223, 4
	ds_write_b128 v0, v[48:51]
	ds_write_b128 v0, v[56:59] offset:288
	ds_write_b128 v0, v[60:63] offset:576
	ds_write_b128 v0, v[64:67] offset:864
	ds_write_b128 v0, v[68:71] offset:1152
.LBB0_25:
	s_or_b32 exec_lo, exec_lo, s2
	s_waitcnt lgkmcnt(0)
	s_barrier
	buffer_gl0_inv
	s_and_saveexec_b32 s0, s1
	s_cbranch_execz .LBB0_27
; %bb.26:
	ds_read_b128 v[32:35], v255
	ds_read_b128 v[52:55], v255 offset:1440
	ds_read_b128 v[44:47], v255 offset:2880
	;; [unrolled: 1-line block ×10, first 2 shown]
.LBB0_27:
	s_or_b32 exec_lo, exec_lo, s0
	s_and_saveexec_b32 s33, s1
	s_cbranch_execz .LBB0_29
; %bb.28:
	s_waitcnt lgkmcnt(9)
	v_mul_f64 v[0:1], v[82:83], v[54:55]
	s_waitcnt lgkmcnt(0)
	v_mul_f64 v[2:3], v[134:135], v[138:139]
	v_mul_f64 v[4:5], v[82:83], v[52:53]
	;; [unrolled: 1-line block ×16, first 2 shown]
	s_mov_b32 s22, 0xfd768dbf
	s_mov_b32 s23, 0xbfd207e7
	v_mul_f64 v[18:19], v[114:115], v[62:63]
	s_mov_b32 s14, 0xbb3a28a1
	s_mov_b32 s12, 0xf8bb580b
	v_fma_f64 v[28:29], v[80:81], v[52:53], v[0:1]
	v_fma_f64 v[0:1], v[132:133], v[136:137], v[2:3]
	v_fma_f64 v[30:31], v[80:81], v[54:55], -v[4:5]
	v_fma_f64 v[2:3], v[132:133], v[138:139], -v[6:7]
	v_mul_f64 v[52:53], v[110:111], v[40:41]
	v_mul_f64 v[54:55], v[114:115], v[60:61]
	v_fma_f64 v[20:21], v[124:125], v[44:45], v[20:21]
	v_fma_f64 v[4:5], v[128:129], v[68:69], v[22:23]
	v_fma_f64 v[22:23], v[124:125], v[46:47], -v[24:25]
	v_fma_f64 v[6:7], v[128:129], v[70:71], -v[26:27]
	v_fma_f64 v[44:45], v[120:121], v[48:49], v[8:9]
	v_fma_f64 v[46:47], v[116:117], v[56:57], v[10:11]
	v_fma_f64 v[12:13], v[120:121], v[50:51], -v[12:13]
	v_fma_f64 v[14:15], v[116:117], v[58:59], -v[14:15]
	v_fma_f64 v[16:17], v[108:109], v[40:41], v[16:17]
	v_fma_f64 v[36:37], v[100:101], v[36:37], v[72:73]
	;; [unrolled: 1-line block ×3, first 2 shown]
	v_fma_f64 v[38:39], v[100:101], v[38:39], -v[76:77]
	v_fma_f64 v[10:11], v[104:105], v[66:67], -v[78:79]
	s_mov_b32 s18, 0x9bcd5057
	s_mov_b32 s15, 0xbfe82f19
	;; [unrolled: 1-line block ×4, first 2 shown]
	v_add_f64 v[24:25], v[28:29], -v[0:1]
	v_fma_f64 v[18:19], v[112:113], v[60:61], v[18:19]
	v_add_f64 v[26:27], v[30:31], -v[2:3]
	v_fma_f64 v[40:41], v[108:109], v[42:43], -v[52:53]
	v_fma_f64 v[42:43], v[112:113], v[62:63], -v[54:55]
	v_add_f64 v[52:53], v[30:31], v[2:3]
	v_add_f64 v[48:49], v[20:21], -v[4:5]
	v_add_f64 v[54:55], v[28:29], v[0:1]
	v_add_f64 v[50:51], v[22:23], -v[6:7]
	v_add_f64 v[66:67], v[22:23], v[6:7]
	v_add_f64 v[74:75], v[20:21], v[4:5]
	s_mov_b32 s16, 0x43842ef
	s_mov_b32 s2, 0x7f775887
	;; [unrolled: 1-line block ×4, first 2 shown]
	v_add_f64 v[64:65], v[36:37], -v[8:9]
	s_mov_b32 s3, 0xbfe4f49e
	v_add_f64 v[72:73], v[38:39], -v[10:11]
	s_mov_b32 s5, 0x3feaeb8c
	s_mov_b32 s27, 0x3fefac9e
	;; [unrolled: 1-line block ×3, first 2 shown]
	v_add_f64 v[88:89], v[38:39], v[10:11]
	v_mul_f64 v[56:57], v[24:25], s[22:23]
	v_mul_f64 v[96:97], v[24:25], s[14:15]
	;; [unrolled: 1-line block ×3, first 2 shown]
	v_add_f64 v[62:63], v[16:17], -v[18:19]
	v_add_f64 v[70:71], v[40:41], -v[42:43]
	v_add_f64 v[94:95], v[36:37], v[8:9]
	v_mul_f64 v[76:77], v[48:49], s[12:13]
	v_mul_f64 v[108:109], v[26:27], s[14:15]
	;; [unrolled: 1-line block ×6, first 2 shown]
	s_mov_b32 s0, 0x640f44db
	s_mov_b32 s1, 0xbfc2375f
	;; [unrolled: 1-line block ×3, first 2 shown]
	v_mul_f64 v[102:103], v[64:65], s[14:15]
	s_mov_b32 s24, 0x8eee2c13
	v_mul_f64 v[110:111], v[72:73], s[14:15]
	s_mov_b32 s29, 0xbfe14ced
	s_mov_b32 s31, 0x3fd207e7
	;; [unrolled: 1-line block ×4, first 2 shown]
	v_fma_f64 v[84:85], v[52:53], s[18:19], v[56:57]
	v_fma_f64 v[56:57], v[52:53], s[18:19], -v[56:57]
	v_fma_f64 v[86:87], v[54:55], s[18:19], -v[58:59]
	v_fma_f64 v[58:59], v[54:55], s[18:19], v[58:59]
	v_fma_f64 v[126:127], v[52:53], s[2:3], v[96:97]
	v_add_f64 v[82:83], v[40:41], v[42:43]
	v_fma_f64 v[112:113], v[66:67], s[4:5], v[76:77]
	v_fma_f64 v[76:77], v[66:67], s[4:5], -v[76:77]
	v_fma_f64 v[114:115], v[74:75], s[4:5], -v[78:79]
	v_fma_f64 v[78:79], v[74:75], s[4:5], v[78:79]
	v_add_f64 v[92:93], v[16:17], v[18:19]
	v_add_f64 v[30:31], v[34:35], v[30:31]
	;; [unrolled: 1-line block ×3, first 2 shown]
	v_mul_f64 v[100:101], v[62:63], s[24:25]
	v_mul_f64 v[106:107], v[70:71], s[24:25]
	;; [unrolled: 1-line block ×4, first 2 shown]
	v_fma_f64 v[138:139], v[88:89], s[2:3], v[102:103]
	v_fma_f64 v[140:141], v[54:55], s[2:3], -v[108:109]
	v_fma_f64 v[142:143], v[94:95], s[2:3], -v[110:111]
	v_fma_f64 v[102:103], v[88:89], s[2:3], -v[102:103]
	v_fma_f64 v[110:111], v[94:95], s[2:3], v[110:111]
	v_add_f64 v[84:85], v[34:35], v[84:85]
	v_add_f64 v[56:57], v[34:35], v[56:57]
	;; [unrolled: 1-line block ×4, first 2 shown]
	v_fma_f64 v[96:97], v[52:53], s[2:3], -v[96:97]
	v_fma_f64 v[108:109], v[54:55], s[2:3], v[108:109]
	v_fma_f64 v[144:145], v[66:67], s[0:1], v[124:125]
	v_add_f64 v[126:127], v[34:35], v[126:127]
	v_fma_f64 v[148:149], v[54:55], s[0:1], -v[134:135]
	s_mov_b32 s20, 0xd9c712b6
	s_mov_b32 s21, 0x3fda9628
	v_mul_f64 v[118:119], v[62:63], s[22:23]
	v_mul_f64 v[130:131], v[72:73], s[28:29]
	;; [unrolled: 1-line block ×3, first 2 shown]
	v_add_f64 v[22:23], v[30:31], v[22:23]
	v_fma_f64 v[30:31], v[82:83], s[20:21], v[100:101]
	v_fma_f64 v[146:147], v[92:93], s[20:21], -v[106:107]
	v_fma_f64 v[100:101], v[82:83], s[20:21], -v[100:101]
	;; [unrolled: 1-line block ×3, first 2 shown]
	v_fma_f64 v[106:107], v[92:93], s[20:21], v[106:107]
	v_fma_f64 v[124:125], v[66:67], s[0:1], -v[124:125]
	v_fma_f64 v[132:133], v[74:75], s[0:1], v[132:133]
	v_add_f64 v[84:85], v[112:113], v[84:85]
	v_add_f64 v[56:57], v[76:77], v[56:57]
	;; [unrolled: 1-line block ×4, first 2 shown]
	v_mul_f64 v[76:77], v[48:49], s[30:31]
	v_mul_f64 v[112:113], v[50:51], s[30:31]
	v_fma_f64 v[114:115], v[52:53], s[0:1], v[122:123]
	v_mul_f64 v[78:79], v[72:73], s[24:25]
	v_add_f64 v[96:97], v[34:35], v[96:97]
	v_add_f64 v[108:109], v[32:33], v[108:109]
	;; [unrolled: 1-line block ×5, first 2 shown]
	v_add_f64 v[60:61], v[44:45], -v[46:47]
	v_add_f64 v[68:69], v[12:13], -v[14:15]
	v_mul_f64 v[128:129], v[70:71], s[22:23]
	v_add_f64 v[140:141], v[32:33], v[140:141]
	v_fma_f64 v[148:149], v[94:95], s[4:5], -v[130:131]
	v_fma_f64 v[130:131], v[94:95], s[4:5], v[130:131]
	v_fma_f64 v[122:123], v[52:53], s[0:1], -v[122:123]
	v_add_f64 v[22:23], v[22:23], v[38:39]
	v_add_f64 v[80:81], v[12:13], v[14:15]
	;; [unrolled: 1-line block ×6, first 2 shown]
	v_fma_f64 v[102:103], v[66:67], s[18:19], v[76:77]
	v_fma_f64 v[142:143], v[74:75], s[18:19], -v[112:113]
	v_add_f64 v[110:111], v[34:35], v[114:115]
	v_fma_f64 v[114:115], v[88:89], s[4:5], v[120:121]
	v_fma_f64 v[120:121], v[88:89], s[4:5], -v[120:121]
	v_add_f64 v[96:97], v[124:125], v[96:97]
	v_add_f64 v[108:109], v[132:133], v[108:109]
	v_fma_f64 v[132:133], v[94:95], s[20:21], -v[78:79]
	v_add_f64 v[20:21], v[20:21], v[36:37]
	v_mul_f64 v[116:117], v[60:61], s[24:25]
	v_fma_f64 v[36:37], v[82:83], s[18:19], -v[118:119]
	v_fma_f64 v[76:77], v[66:67], s[18:19], -v[76:77]
	v_add_f64 v[140:141], v[150:151], v[140:141]
	v_fma_f64 v[112:113], v[74:75], s[18:19], v[112:113]
	v_fma_f64 v[78:79], v[94:95], s[20:21], v[78:79]
	v_add_f64 v[90:91], v[44:45], v[46:47]
	v_add_f64 v[22:23], v[22:23], v[40:41]
	v_mul_f64 v[98:99], v[60:61], s[16:17]
	v_add_f64 v[30:31], v[30:31], v[84:85]
	v_add_f64 v[56:57], v[100:101], v[56:57]
	v_fma_f64 v[100:101], v[54:55], s[0:1], v[134:135]
	v_add_f64 v[58:59], v[106:107], v[58:59]
	v_fma_f64 v[106:107], v[88:89], s[20:21], v[136:137]
	v_add_f64 v[134:135], v[142:143], v[144:145]
	v_add_f64 v[102:103], v[102:103], v[110:111]
	v_fma_f64 v[110:111], v[82:83], s[18:19], v[118:119]
	v_add_f64 v[114:115], v[114:115], v[126:127]
	v_mul_f64 v[126:127], v[70:71], s[28:29]
	v_add_f64 v[84:85], v[146:147], v[86:87]
	v_mul_f64 v[86:87], v[62:63], s[28:29]
	v_mul_f64 v[142:143], v[68:69], s[24:25]
	s_mov_b32 s25, 0xbfed1bb4
	v_fma_f64 v[144:145], v[92:93], s[18:19], -v[128:129]
	v_add_f64 v[38:39], v[120:121], v[96:97]
	v_fma_f64 v[96:97], v[92:93], s[18:19], v[128:129]
	v_add_f64 v[118:119], v[34:35], v[122:123]
	v_add_f64 v[108:109], v[130:131], v[108:109]
	;; [unrolled: 1-line block ×3, first 2 shown]
	v_mul_f64 v[20:21], v[26:27], s[28:29]
	v_mul_f64 v[26:27], v[26:27], s[24:25]
	v_add_f64 v[140:141], v[148:149], v[140:141]
	v_add_f64 v[12:13], v[22:23], v[12:13]
	;; [unrolled: 1-line block ×3, first 2 shown]
	v_fma_f64 v[124:125], v[80:81], s[20:21], v[116:117]
	v_fma_f64 v[40:41], v[80:81], s[20:21], -v[116:117]
	v_add_f64 v[130:131], v[132:133], v[134:135]
	v_add_f64 v[102:103], v[106:107], v[102:103]
	v_fma_f64 v[116:117], v[88:89], s[20:21], -v[136:137]
	v_add_f64 v[106:107], v[110:111], v[114:115]
	v_mul_f64 v[110:111], v[24:25], s[24:25]
	v_fma_f64 v[128:129], v[92:93], s[4:5], -v[126:127]
	v_mul_f64 v[24:25], v[24:25], s[28:29]
	v_fma_f64 v[122:123], v[82:83], s[4:5], v[86:87]
	v_fma_f64 v[132:133], v[90:91], s[20:21], -v[142:143]
	v_fma_f64 v[86:87], v[82:83], s[4:5], -v[86:87]
	v_add_f64 v[36:37], v[36:37], v[38:39]
	v_fma_f64 v[38:39], v[90:91], s[20:21], v[142:143]
	v_add_f64 v[76:77], v[76:77], v[118:119]
	v_mul_f64 v[104:105], v[68:69], s[16:17]
	v_add_f64 v[16:17], v[16:17], v[44:45]
	v_fma_f64 v[22:23], v[54:55], s[4:5], v[20:21]
	v_fma_f64 v[44:45], v[54:55], s[20:21], v[26:27]
	v_fma_f64 v[26:27], v[54:55], s[20:21], -v[26:27]
	v_fma_f64 v[20:21], v[54:55], s[4:5], -v[20:21]
	v_add_f64 v[100:101], v[112:113], v[100:101]
	v_mul_f64 v[112:113], v[48:49], s[14:15]
	v_mul_f64 v[48:49], v[48:49], s[24:25]
	v_add_f64 v[134:135], v[144:145], v[140:141]
	v_mul_f64 v[54:55], v[64:65], s[30:31]
	v_mul_f64 v[64:65], v[64:65], s[16:17]
	v_add_f64 v[12:13], v[12:13], v[14:15]
	v_fma_f64 v[118:119], v[52:53], s[20:21], -v[110:111]
	v_add_f64 v[128:129], v[128:129], v[130:131]
	v_fma_f64 v[130:131], v[52:53], s[4:5], -v[24:25]
	v_add_f64 v[102:103], v[122:123], v[102:103]
	v_mul_f64 v[122:123], v[50:51], s[14:15]
	v_mul_f64 v[50:51], v[50:51], s[24:25]
	v_fma_f64 v[110:111], v[52:53], s[20:21], v[110:111]
	v_fma_f64 v[24:25], v[52:53], s[4:5], v[24:25]
	v_add_f64 v[76:77], v[116:117], v[76:77]
	v_fma_f64 v[116:117], v[92:93], s[4:5], v[126:127]
	v_add_f64 v[14:15], v[16:17], v[46:47]
	v_add_f64 v[16:17], v[32:33], v[22:23]
	;; [unrolled: 1-line block ×6, first 2 shown]
	v_fma_f64 v[100:101], v[66:67], s[2:3], -v[112:113]
	v_fma_f64 v[140:141], v[66:67], s[20:21], -v[48:49]
	v_mul_f64 v[78:79], v[72:73], s[30:31]
	v_mul_f64 v[72:73], v[72:73], s[16:17]
	v_fma_f64 v[44:45], v[66:67], s[2:3], v[112:113]
	v_fma_f64 v[48:49], v[66:67], s[20:21], v[48:49]
	v_add_f64 v[118:119], v[34:35], v[118:119]
	v_mul_f64 v[32:33], v[62:63], s[26:27]
	v_add_f64 v[130:131], v[34:35], v[130:131]
	v_fma_f64 v[66:67], v[88:89], s[18:19], -v[54:55]
	v_fma_f64 v[126:127], v[74:75], s[2:3], v[122:123]
	v_fma_f64 v[142:143], v[74:75], s[20:21], v[50:51]
	v_add_f64 v[46:47], v[34:35], v[110:111]
	v_fma_f64 v[110:111], v[74:75], s[2:3], -v[122:123]
	v_add_f64 v[24:25], v[34:35], v[24:25]
	v_fma_f64 v[34:35], v[74:75], s[20:21], -v[50:51]
	v_mul_f64 v[62:63], v[62:63], s[14:15]
	v_fma_f64 v[112:113], v[88:89], s[0:1], -v[64:65]
	v_add_f64 v[12:13], v[12:13], v[42:43]
	v_add_f64 v[14:15], v[14:15], v[18:19]
	v_mul_f64 v[50:51], v[70:71], s[26:27]
	v_mul_f64 v[70:71], v[70:71], s[14:15]
	;; [unrolled: 1-line block ×4, first 2 shown]
	v_fma_f64 v[28:29], v[80:81], s[0:1], v[98:99]
	v_fma_f64 v[122:123], v[94:95], s[0:1], v[72:73]
	v_add_f64 v[96:97], v[96:97], v[108:109]
	v_fma_f64 v[138:139], v[90:91], s[0:1], -v[104:105]
	v_add_f64 v[74:75], v[100:101], v[118:119]
	v_fma_f64 v[100:101], v[94:95], s[18:19], v[78:79]
	v_add_f64 v[118:119], v[140:141], v[130:131]
	v_fma_f64 v[98:99], v[80:81], s[0:1], -v[98:99]
	v_add_f64 v[18:19], v[126:127], v[22:23]
	v_add_f64 v[16:17], v[142:143], v[16:17]
	v_fma_f64 v[22:23], v[88:89], s[18:19], v[54:55]
	v_add_f64 v[42:43], v[44:45], v[46:47]
	v_fma_f64 v[44:45], v[94:95], s[18:19], -v[78:79]
	v_add_f64 v[26:27], v[110:111], v[26:27]
	v_fma_f64 v[46:47], v[88:89], s[0:1], v[64:65]
	v_add_f64 v[24:25], v[48:49], v[24:25]
	v_fma_f64 v[48:49], v[94:95], s[0:1], -v[72:73]
	v_add_f64 v[20:21], v[34:35], v[20:21]
	v_add_f64 v[10:11], v[12:13], v[10:11]
	;; [unrolled: 1-line block ×3, first 2 shown]
	v_mul_f64 v[34:35], v[60:61], s[12:13]
	v_mul_f64 v[54:55], v[68:69], s[12:13]
	v_fma_f64 v[64:65], v[82:83], s[0:1], -v[32:33]
	v_mul_f64 v[60:61], v[60:61], s[22:23]
	v_mul_f64 v[68:69], v[68:69], s[22:23]
	v_fma_f64 v[88:89], v[92:93], s[2:3], v[70:71]
	v_add_f64 v[66:67], v[66:67], v[74:75]
	v_fma_f64 v[74:75], v[82:83], s[2:3], -v[62:63]
	v_add_f64 v[78:79], v[112:113], v[118:119]
	v_fma_f64 v[72:73], v[92:93], s[0:1], v[50:51]
	v_add_f64 v[14:15], v[100:101], v[18:19]
	v_add_f64 v[12:13], v[122:123], v[16:17]
	v_fma_f64 v[16:17], v[82:83], s[0:1], v[32:33]
	v_add_f64 v[18:19], v[22:23], v[42:43]
	v_fma_f64 v[22:23], v[92:93], s[0:1], -v[50:51]
	v_add_f64 v[26:27], v[44:45], v[26:27]
	v_fma_f64 v[32:33], v[82:83], s[2:3], v[62:63]
	v_add_f64 v[24:25], v[46:47], v[24:25]
	v_fma_f64 v[42:43], v[92:93], s[2:3], -v[70:71]
	v_add_f64 v[20:21], v[48:49], v[20:21]
	v_add_f64 v[46:47], v[86:87], v[76:77]
	;; [unrolled: 1-line block ×4, first 2 shown]
	v_fma_f64 v[52:53], v[80:81], s[4:5], -v[34:35]
	v_fma_f64 v[44:45], v[80:81], s[2:3], -v[120:121]
	v_fma_f64 v[48:49], v[90:91], s[2:3], v[114:115]
	v_fma_f64 v[104:105], v[90:91], s[0:1], v[104:105]
	;; [unrolled: 1-line block ×3, first 2 shown]
	v_add_f64 v[62:63], v[64:65], v[66:67]
	v_fma_f64 v[66:67], v[80:81], s[18:19], -v[60:61]
	v_add_f64 v[70:71], v[74:75], v[78:79]
	v_add_f64 v[78:79], v[8:9], v[4:5]
	v_fma_f64 v[74:75], v[90:91], s[18:19], v[68:69]
	v_add_f64 v[82:83], v[88:89], v[12:13]
	v_fma_f64 v[64:65], v[90:91], s[4:5], v[54:55]
	v_add_f64 v[72:73], v[72:73], v[14:15]
	v_fma_f64 v[136:137], v[90:91], s[2:3], -v[114:115]
	v_fma_f64 v[86:87], v[80:81], s[4:5], v[34:35]
	v_add_f64 v[88:89], v[16:17], v[18:19]
	v_fma_f64 v[54:55], v[90:91], s[4:5], -v[54:55]
	v_add_f64 v[92:93], v[22:23], v[26:27]
	v_fma_f64 v[60:61], v[80:81], s[18:19], v[60:61]
	v_add_f64 v[80:81], v[32:33], v[24:25]
	v_fma_f64 v[68:69], v[90:91], s[18:19], -v[68:69]
	v_add_f64 v[90:91], v[42:43], v[20:21]
	v_add_f64 v[2:3], v[76:77], v[2:3]
	;; [unrolled: 1-line block ×23, first 2 shown]
	ds_write_b128 v255, v[0:3]
	ds_write_b128 v255, v[28:31] offset:1440
	ds_write_b128 v255, v[24:27] offset:2880
	ds_write_b128 v255, v[20:23] offset:4320
	ds_write_b128 v255, v[16:19] offset:5760
	ds_write_b128 v255, v[8:11] offset:7200
	ds_write_b128 v255, v[4:7] offset:8640
	ds_write_b128 v255, v[12:15] offset:10080
	ds_write_b128 v255, v[32:35] offset:11520
	ds_write_b128 v255, v[36:39] offset:12960
	ds_write_b128 v255, v[40:43] offset:14400
.LBB0_29:
	s_or_b32 exec_lo, exec_lo, s33
	s_waitcnt lgkmcnt(0)
	s_barrier
	buffer_gl0_inv
	ds_read_b128 v[0:3], v255
	ds_read_b128 v[4:7], v255 offset:7920
	ds_read_b128 v[8:11], v255 offset:1760
	;; [unrolled: 1-line block ×5, first 2 shown]
	s_clause 0x7
	buffer_load_dword v60, off, s[40:43], 0
	buffer_load_dword v61, off, s[40:43], 0 offset:4
	buffer_load_dword v62, off, s[40:43], 0 offset:8
	;; [unrolled: 1-line block ×7, first 2 shown]
	ds_read_b128 v[24:27], v255 offset:5280
	ds_read_b128 v[28:31], v255 offset:13200
	v_mad_u64_u32 v[32:33], null, s10, v229, 0
	v_mad_u64_u32 v[34:35], null, s8, v224, 0
	s_mul_i32 s0, s9, 0x1ef
	s_mul_hi_u32 s1, s8, 0x1ef
	s_mul_i32 s4, s8, 0x1ef
	s_add_i32 s5, s1, s0
	s_mov_b32 s2, 0xb37565e2
	s_lshl_b64 s[4:5], s[4:5], 4
	v_mad_u64_u32 v[46:47], null, s11, v229, v[33:34]
	s_mov_b32 s3, 0x3f508cab
	s_mul_i32 s1, s9, 0xfffffe7f
	v_mov_b32_e32 v33, v46
	v_lshlrev_b64 v[32:33], 4, v[32:33]
	s_waitcnt vmcnt(4) lgkmcnt(7)
	v_mul_f64 v[36:37], v[62:63], v[2:3]
	v_mul_f64 v[38:39], v[62:63], v[0:1]
	s_clause 0x3
	buffer_load_dword v62, off, s[40:43], 0 offset:16
	buffer_load_dword v63, off, s[40:43], 0 offset:20
	;; [unrolled: 1-line block ×4, first 2 shown]
	s_waitcnt vmcnt(4) lgkmcnt(6)
	v_mul_f64 v[40:41], v[74:75], v[6:7]
	v_mul_f64 v[42:43], v[74:75], v[4:5]
	v_mad_u64_u32 v[47:48], null, s9, v224, v[35:36]
	v_fma_f64 v[0:1], v[60:61], v[0:1], v[36:37]
	v_fma_f64 v[4:5], v[72:73], v[4:5], v[40:41]
	v_fma_f64 v[6:7], v[72:73], v[6:7], -v[42:43]
	v_fma_f64 v[2:3], v[60:61], v[2:3], -v[38:39]
	v_mov_b32_e32 v35, v47
	v_lshlrev_b64 v[34:35], 4, v[34:35]
	v_mul_f64 v[0:1], v[0:1], s[2:3]
	v_mul_f64 v[4:5], v[4:5], s[2:3]
	;; [unrolled: 1-line block ×4, first 2 shown]
	s_waitcnt vmcnt(0) lgkmcnt(5)
	v_mul_f64 v[44:45], v[64:65], v[10:11]
	v_mul_f64 v[48:49], v[64:65], v[8:9]
	s_clause 0x3
	buffer_load_dword v64, off, s[40:43], 0 offset:32
	buffer_load_dword v65, off, s[40:43], 0 offset:36
	;; [unrolled: 1-line block ×4, first 2 shown]
	v_fma_f64 v[8:9], v[62:63], v[8:9], v[44:45]
	v_add_co_u32 v44, s0, s6, v32
	v_add_co_ci_u32_e64 v45, s0, s7, v33, s0
	v_fma_f64 v[10:11], v[62:63], v[10:11], -v[48:49]
	v_add_co_u32 v34, s0, v44, v34
	v_add_co_ci_u32_e64 v35, s0, v45, v35, s0
	v_add_co_u32 v44, s0, v34, s4
	v_add_co_ci_u32_e64 v45, s0, s5, v35, s0
	s_mul_hi_u32 s0, s8, 0xfffffe7f
	s_sub_i32 s0, s0, s8
	s_add_i32 s1, s0, s1
	s_mul_i32 s0, s8, 0xfffffe7f
	s_lshl_b64 s[6:7], s[0:1], 4
	v_mul_f64 v[8:9], v[8:9], s[2:3]
	v_mul_f64 v[10:11], v[10:11], s[2:3]
	s_waitcnt vmcnt(0) lgkmcnt(4)
	v_mul_f64 v[50:51], v[66:67], v[14:15]
	v_mul_f64 v[52:53], v[66:67], v[12:13]
	s_clause 0x3
	buffer_load_dword v66, off, s[40:43], 0 offset:48
	buffer_load_dword v67, off, s[40:43], 0 offset:52
	buffer_load_dword v68, off, s[40:43], 0 offset:56
	buffer_load_dword v69, off, s[40:43], 0 offset:60
	v_fma_f64 v[12:13], v[64:65], v[12:13], v[50:51]
	v_fma_f64 v[14:15], v[64:65], v[14:15], -v[52:53]
	v_mul_f64 v[12:13], v[12:13], s[2:3]
	v_mul_f64 v[14:15], v[14:15], s[2:3]
	s_waitcnt vmcnt(0) lgkmcnt(3)
	v_mul_f64 v[54:55], v[68:69], v[18:19]
	v_mul_f64 v[56:57], v[68:69], v[16:17]
	s_clause 0x3
	buffer_load_dword v68, off, s[40:43], 0 offset:64
	buffer_load_dword v69, off, s[40:43], 0 offset:68
	buffer_load_dword v70, off, s[40:43], 0 offset:72
	buffer_load_dword v71, off, s[40:43], 0 offset:76
	v_fma_f64 v[16:17], v[66:67], v[16:17], v[54:55]
	v_fma_f64 v[18:19], v[66:67], v[18:19], -v[56:57]
	;; [unrolled: 12-line block ×3, first 2 shown]
	v_mul_f64 v[20:21], v[20:21], s[2:3]
	v_mul_f64 v[22:23], v[22:23], s[2:3]
	s_waitcnt vmcnt(0) lgkmcnt(1)
	v_mul_f64 v[38:39], v[72:73], v[26:27]
	v_mul_f64 v[40:41], v[72:73], v[24:25]
	s_clause 0x3
	buffer_load_dword v72, off, s[40:43], 0 offset:112
	buffer_load_dword v73, off, s[40:43], 0 offset:116
	;; [unrolled: 1-line block ×4, first 2 shown]
	global_store_dwordx4 v[34:35], v[0:3], off
	global_store_dwordx4 v[44:45], v[4:7], off
	v_fma_f64 v[24:25], v[70:71], v[24:25], v[38:39]
	v_fma_f64 v[26:27], v[70:71], v[26:27], -v[40:41]
	v_mul_f64 v[24:25], v[24:25], s[2:3]
	v_mul_f64 v[26:27], v[26:27], s[2:3]
	s_waitcnt vmcnt(0) lgkmcnt(0)
	v_mul_f64 v[42:43], v[74:75], v[30:31]
	v_mul_f64 v[32:33], v[74:75], v[28:29]
	v_fma_f64 v[28:29], v[72:73], v[28:29], v[42:43]
	v_fma_f64 v[30:31], v[72:73], v[30:31], -v[32:33]
	v_add_co_u32 v32, s0, v44, s6
	v_add_co_ci_u32_e64 v33, s0, s7, v45, s0
	v_add_co_u32 v36, s0, v32, s4
	v_add_co_ci_u32_e64 v37, s0, s5, v33, s0
	global_store_dwordx4 v[32:33], v[8:11], off
	v_add_co_u32 v38, s0, v36, s6
	v_add_co_ci_u32_e64 v39, s0, s7, v37, s0
	v_add_co_u32 v2, s0, v38, s4
	v_add_co_ci_u32_e64 v3, s0, s5, v39, s0
	v_mul_f64 v[28:29], v[28:29], s[2:3]
	v_mul_f64 v[30:31], v[30:31], s[2:3]
	v_add_co_u32 v4, s0, v2, s6
	v_add_co_ci_u32_e64 v5, s0, s7, v3, s0
	v_add_co_u32 v0, s0, v4, s4
	v_add_co_ci_u32_e64 v1, s0, s5, v5, s0
	global_store_dwordx4 v[36:37], v[12:15], off
	global_store_dwordx4 v[38:39], v[16:19], off
	;; [unrolled: 1-line block ×5, first 2 shown]
	s_and_b32 exec_lo, exec_lo, vcc_lo
	s_cbranch_execz .LBB0_31
; %bb.30:
	s_clause 0x1
	global_load_dwordx4 v[2:5], v[227:228], off offset:896
	global_load_dwordx4 v[6:9], v[183:184], off offset:624
	ds_read_b128 v[10:13], v255 offset:7040
	ds_read_b128 v[14:17], v255 offset:14960
	v_add_co_u32 v0, vcc_lo, v0, s6
	v_add_co_ci_u32_e32 v1, vcc_lo, s7, v1, vcc_lo
	s_waitcnt vmcnt(1) lgkmcnt(1)
	v_mul_f64 v[18:19], v[12:13], v[4:5]
	v_mul_f64 v[4:5], v[10:11], v[4:5]
	s_waitcnt vmcnt(0) lgkmcnt(0)
	v_mul_f64 v[20:21], v[16:17], v[8:9]
	v_mul_f64 v[8:9], v[14:15], v[8:9]
	v_fma_f64 v[10:11], v[10:11], v[2:3], v[18:19]
	v_fma_f64 v[4:5], v[2:3], v[12:13], -v[4:5]
	v_fma_f64 v[12:13], v[14:15], v[6:7], v[20:21]
	v_fma_f64 v[8:9], v[6:7], v[16:17], -v[8:9]
	v_mul_f64 v[2:3], v[10:11], s[2:3]
	v_mul_f64 v[4:5], v[4:5], s[2:3]
	;; [unrolled: 1-line block ×4, first 2 shown]
	v_add_co_u32 v10, vcc_lo, v0, s4
	v_add_co_ci_u32_e32 v11, vcc_lo, s5, v1, vcc_lo
	global_store_dwordx4 v[0:1], v[2:5], off
	global_store_dwordx4 v[10:11], v[6:9], off
.LBB0_31:
	s_endpgm
	.section	.rodata,"a",@progbits
	.p2align	6, 0x0
	.amdhsa_kernel bluestein_single_back_len990_dim1_dp_op_CI_CI
		.amdhsa_group_segment_fixed_size 15840
		.amdhsa_private_segment_fixed_size 296
		.amdhsa_kernarg_size 104
		.amdhsa_user_sgpr_count 6
		.amdhsa_user_sgpr_private_segment_buffer 1
		.amdhsa_user_sgpr_dispatch_ptr 0
		.amdhsa_user_sgpr_queue_ptr 0
		.amdhsa_user_sgpr_kernarg_segment_ptr 1
		.amdhsa_user_sgpr_dispatch_id 0
		.amdhsa_user_sgpr_flat_scratch_init 0
		.amdhsa_user_sgpr_private_segment_size 0
		.amdhsa_wavefront_size32 1
		.amdhsa_uses_dynamic_stack 0
		.amdhsa_system_sgpr_private_segment_wavefront_offset 1
		.amdhsa_system_sgpr_workgroup_id_x 1
		.amdhsa_system_sgpr_workgroup_id_y 0
		.amdhsa_system_sgpr_workgroup_id_z 0
		.amdhsa_system_sgpr_workgroup_info 0
		.amdhsa_system_vgpr_workitem_id 0
		.amdhsa_next_free_vgpr 256
		.amdhsa_next_free_sgpr 44
		.amdhsa_reserve_vcc 1
		.amdhsa_reserve_flat_scratch 0
		.amdhsa_float_round_mode_32 0
		.amdhsa_float_round_mode_16_64 0
		.amdhsa_float_denorm_mode_32 3
		.amdhsa_float_denorm_mode_16_64 3
		.amdhsa_dx10_clamp 1
		.amdhsa_ieee_mode 1
		.amdhsa_fp16_overflow 0
		.amdhsa_workgroup_processor_mode 1
		.amdhsa_memory_ordered 1
		.amdhsa_forward_progress 0
		.amdhsa_shared_vgpr_count 0
		.amdhsa_exception_fp_ieee_invalid_op 0
		.amdhsa_exception_fp_denorm_src 0
		.amdhsa_exception_fp_ieee_div_zero 0
		.amdhsa_exception_fp_ieee_overflow 0
		.amdhsa_exception_fp_ieee_underflow 0
		.amdhsa_exception_fp_ieee_inexact 0
		.amdhsa_exception_int_div_zero 0
	.end_amdhsa_kernel
	.text
.Lfunc_end0:
	.size	bluestein_single_back_len990_dim1_dp_op_CI_CI, .Lfunc_end0-bluestein_single_back_len990_dim1_dp_op_CI_CI
                                        ; -- End function
	.section	.AMDGPU.csdata,"",@progbits
; Kernel info:
; codeLenInByte = 18336
; NumSgprs: 46
; NumVgprs: 256
; ScratchSize: 296
; MemoryBound: 0
; FloatMode: 240
; IeeeMode: 1
; LDSByteSize: 15840 bytes/workgroup (compile time only)
; SGPRBlocks: 5
; VGPRBlocks: 31
; NumSGPRsForWavesPerEU: 46
; NumVGPRsForWavesPerEU: 256
; Occupancy: 4
; WaveLimiterHint : 1
; COMPUTE_PGM_RSRC2:SCRATCH_EN: 1
; COMPUTE_PGM_RSRC2:USER_SGPR: 6
; COMPUTE_PGM_RSRC2:TRAP_HANDLER: 0
; COMPUTE_PGM_RSRC2:TGID_X_EN: 1
; COMPUTE_PGM_RSRC2:TGID_Y_EN: 0
; COMPUTE_PGM_RSRC2:TGID_Z_EN: 0
; COMPUTE_PGM_RSRC2:TIDIG_COMP_CNT: 0
	.text
	.p2alignl 6, 3214868480
	.fill 48, 4, 3214868480
	.type	__hip_cuid_e85bf166172f3320,@object ; @__hip_cuid_e85bf166172f3320
	.section	.bss,"aw",@nobits
	.globl	__hip_cuid_e85bf166172f3320
__hip_cuid_e85bf166172f3320:
	.byte	0                               ; 0x0
	.size	__hip_cuid_e85bf166172f3320, 1

	.ident	"AMD clang version 19.0.0git (https://github.com/RadeonOpenCompute/llvm-project roc-6.4.0 25133 c7fe45cf4b819c5991fe208aaa96edf142730f1d)"
	.section	".note.GNU-stack","",@progbits
	.addrsig
	.addrsig_sym __hip_cuid_e85bf166172f3320
	.amdgpu_metadata
---
amdhsa.kernels:
  - .args:
      - .actual_access:  read_only
        .address_space:  global
        .offset:         0
        .size:           8
        .value_kind:     global_buffer
      - .actual_access:  read_only
        .address_space:  global
        .offset:         8
        .size:           8
        .value_kind:     global_buffer
      - .actual_access:  read_only
        .address_space:  global
        .offset:         16
        .size:           8
        .value_kind:     global_buffer
      - .actual_access:  read_only
        .address_space:  global
        .offset:         24
        .size:           8
        .value_kind:     global_buffer
      - .actual_access:  read_only
        .address_space:  global
        .offset:         32
        .size:           8
        .value_kind:     global_buffer
      - .offset:         40
        .size:           8
        .value_kind:     by_value
      - .address_space:  global
        .offset:         48
        .size:           8
        .value_kind:     global_buffer
      - .address_space:  global
        .offset:         56
        .size:           8
        .value_kind:     global_buffer
      - .address_space:  global
        .offset:         64
        .size:           8
        .value_kind:     global_buffer
      - .address_space:  global
        .offset:         72
        .size:           8
        .value_kind:     global_buffer
      - .offset:         80
        .size:           4
        .value_kind:     by_value
      - .address_space:  global
        .offset:         88
        .size:           8
        .value_kind:     global_buffer
      - .address_space:  global
        .offset:         96
        .size:           8
        .value_kind:     global_buffer
    .group_segment_fixed_size: 15840
    .kernarg_segment_align: 8
    .kernarg_segment_size: 104
    .language:       OpenCL C
    .language_version:
      - 2
      - 0
    .max_flat_workgroup_size: 110
    .name:           bluestein_single_back_len990_dim1_dp_op_CI_CI
    .private_segment_fixed_size: 296
    .sgpr_count:     46
    .sgpr_spill_count: 0
    .symbol:         bluestein_single_back_len990_dim1_dp_op_CI_CI.kd
    .uniform_work_group_size: 1
    .uses_dynamic_stack: false
    .vgpr_count:     256
    .vgpr_spill_count: 73
    .wavefront_size: 32
    .workgroup_processor_mode: 1
amdhsa.target:   amdgcn-amd-amdhsa--gfx1030
amdhsa.version:
  - 1
  - 2
...

	.end_amdgpu_metadata
